;; amdgpu-corpus repo=ROCm/rocFFT kind=compiled arch=gfx1030 opt=O3
	.text
	.amdgcn_target "amdgcn-amd-amdhsa--gfx1030"
	.amdhsa_code_object_version 6
	.protected	fft_rtc_back_len1768_factors_17_13_8_wgs_136_tpt_136_halfLds_half_op_CI_CI_unitstride_sbrr_R2C_dirReg ; -- Begin function fft_rtc_back_len1768_factors_17_13_8_wgs_136_tpt_136_halfLds_half_op_CI_CI_unitstride_sbrr_R2C_dirReg
	.globl	fft_rtc_back_len1768_factors_17_13_8_wgs_136_tpt_136_halfLds_half_op_CI_CI_unitstride_sbrr_R2C_dirReg
	.p2align	8
	.type	fft_rtc_back_len1768_factors_17_13_8_wgs_136_tpt_136_halfLds_half_op_CI_CI_unitstride_sbrr_R2C_dirReg,@function
fft_rtc_back_len1768_factors_17_13_8_wgs_136_tpt_136_halfLds_half_op_CI_CI_unitstride_sbrr_R2C_dirReg: ; @fft_rtc_back_len1768_factors_17_13_8_wgs_136_tpt_136_halfLds_half_op_CI_CI_unitstride_sbrr_R2C_dirReg
; %bb.0:
	s_clause 0x2
	s_load_dwordx4 s[12:15], s[4:5], 0x0
	s_load_dwordx4 s[8:11], s[4:5], 0x58
	;; [unrolled: 1-line block ×3, first 2 shown]
	v_mul_u32_u24_e32 v1, 0x1e2, v0
	v_mov_b32_e32 v3, 0
	v_mov_b32_e32 v7, 0
	;; [unrolled: 1-line block ×3, first 2 shown]
	v_add_nc_u32_sdwa v9, s6, v1 dst_sel:DWORD dst_unused:UNUSED_PAD src0_sel:DWORD src1_sel:WORD_1
	v_mov_b32_e32 v10, v3
	s_waitcnt lgkmcnt(0)
	v_cmp_lt_u64_e64 s0, s[14:15], 2
	s_and_b32 vcc_lo, exec_lo, s0
	s_cbranch_vccnz .LBB0_8
; %bb.1:
	s_load_dwordx2 s[0:1], s[4:5], 0x10
	v_mov_b32_e32 v7, 0
	v_mov_b32_e32 v8, 0
	s_add_u32 s2, s18, 8
	s_addc_u32 s3, s19, 0
	v_mov_b32_e32 v1, v7
	s_add_u32 s6, s16, 8
	v_mov_b32_e32 v2, v8
	s_addc_u32 s7, s17, 0
	s_mov_b64 s[22:23], 1
	s_waitcnt lgkmcnt(0)
	s_add_u32 s20, s0, 8
	s_addc_u32 s21, s1, 0
.LBB0_2:                                ; =>This Inner Loop Header: Depth=1
	s_load_dwordx2 s[24:25], s[20:21], 0x0
                                        ; implicit-def: $vgpr5_vgpr6
	s_mov_b32 s0, exec_lo
	s_waitcnt lgkmcnt(0)
	v_or_b32_e32 v4, s25, v10
	v_cmpx_ne_u64_e32 0, v[3:4]
	s_xor_b32 s1, exec_lo, s0
	s_cbranch_execz .LBB0_4
; %bb.3:                                ;   in Loop: Header=BB0_2 Depth=1
	v_cvt_f32_u32_e32 v4, s24
	v_cvt_f32_u32_e32 v5, s25
	s_sub_u32 s0, 0, s24
	s_subb_u32 s26, 0, s25
	v_fmac_f32_e32 v4, 0x4f800000, v5
	v_rcp_f32_e32 v4, v4
	v_mul_f32_e32 v4, 0x5f7ffffc, v4
	v_mul_f32_e32 v5, 0x2f800000, v4
	v_trunc_f32_e32 v5, v5
	v_fmac_f32_e32 v4, 0xcf800000, v5
	v_cvt_u32_f32_e32 v5, v5
	v_cvt_u32_f32_e32 v4, v4
	v_mul_lo_u32 v6, s0, v5
	v_mul_hi_u32 v11, s0, v4
	v_mul_lo_u32 v12, s26, v4
	v_add_nc_u32_e32 v6, v11, v6
	v_mul_lo_u32 v11, s0, v4
	v_add_nc_u32_e32 v6, v6, v12
	v_mul_hi_u32 v12, v4, v11
	v_mul_lo_u32 v13, v4, v6
	v_mul_hi_u32 v14, v4, v6
	v_mul_hi_u32 v15, v5, v11
	v_mul_lo_u32 v11, v5, v11
	v_mul_hi_u32 v16, v5, v6
	v_mul_lo_u32 v6, v5, v6
	v_add_co_u32 v12, vcc_lo, v12, v13
	v_add_co_ci_u32_e32 v13, vcc_lo, 0, v14, vcc_lo
	v_add_co_u32 v11, vcc_lo, v12, v11
	v_add_co_ci_u32_e32 v11, vcc_lo, v13, v15, vcc_lo
	v_add_co_ci_u32_e32 v12, vcc_lo, 0, v16, vcc_lo
	v_add_co_u32 v6, vcc_lo, v11, v6
	v_add_co_ci_u32_e32 v11, vcc_lo, 0, v12, vcc_lo
	v_add_co_u32 v4, vcc_lo, v4, v6
	v_add_co_ci_u32_e32 v5, vcc_lo, v5, v11, vcc_lo
	v_mul_hi_u32 v6, s0, v4
	v_mul_lo_u32 v12, s26, v4
	v_mul_lo_u32 v11, s0, v5
	v_add_nc_u32_e32 v6, v6, v11
	v_mul_lo_u32 v11, s0, v4
	v_add_nc_u32_e32 v6, v6, v12
	v_mul_hi_u32 v12, v4, v11
	v_mul_lo_u32 v13, v4, v6
	v_mul_hi_u32 v14, v4, v6
	v_mul_hi_u32 v15, v5, v11
	v_mul_lo_u32 v11, v5, v11
	v_mul_hi_u32 v16, v5, v6
	v_mul_lo_u32 v6, v5, v6
	v_add_co_u32 v12, vcc_lo, v12, v13
	v_add_co_ci_u32_e32 v13, vcc_lo, 0, v14, vcc_lo
	v_add_co_u32 v11, vcc_lo, v12, v11
	v_add_co_ci_u32_e32 v11, vcc_lo, v13, v15, vcc_lo
	v_add_co_ci_u32_e32 v12, vcc_lo, 0, v16, vcc_lo
	v_add_co_u32 v6, vcc_lo, v11, v6
	v_add_co_ci_u32_e32 v11, vcc_lo, 0, v12, vcc_lo
	v_add_co_u32 v6, vcc_lo, v4, v6
	v_add_co_ci_u32_e32 v13, vcc_lo, v5, v11, vcc_lo
	v_mul_hi_u32 v15, v9, v6
	v_mad_u64_u32 v[11:12], null, v10, v6, 0
	v_mad_u64_u32 v[4:5], null, v9, v13, 0
	;; [unrolled: 1-line block ×3, first 2 shown]
	v_add_co_u32 v4, vcc_lo, v15, v4
	v_add_co_ci_u32_e32 v5, vcc_lo, 0, v5, vcc_lo
	v_add_co_u32 v4, vcc_lo, v4, v11
	v_add_co_ci_u32_e32 v4, vcc_lo, v5, v12, vcc_lo
	v_add_co_ci_u32_e32 v5, vcc_lo, 0, v14, vcc_lo
	v_add_co_u32 v11, vcc_lo, v4, v13
	v_add_co_ci_u32_e32 v6, vcc_lo, 0, v5, vcc_lo
	v_mul_lo_u32 v12, s25, v11
	v_mad_u64_u32 v[4:5], null, s24, v11, 0
	v_mul_lo_u32 v13, s24, v6
	v_sub_co_u32 v4, vcc_lo, v9, v4
	v_add3_u32 v5, v5, v13, v12
	v_sub_nc_u32_e32 v12, v10, v5
	v_subrev_co_ci_u32_e64 v12, s0, s25, v12, vcc_lo
	v_add_co_u32 v13, s0, v11, 2
	v_add_co_ci_u32_e64 v14, s0, 0, v6, s0
	v_sub_co_u32 v15, s0, v4, s24
	v_sub_co_ci_u32_e32 v5, vcc_lo, v10, v5, vcc_lo
	v_subrev_co_ci_u32_e64 v12, s0, 0, v12, s0
	v_cmp_le_u32_e32 vcc_lo, s24, v15
	v_cmp_eq_u32_e64 s0, s25, v5
	v_cndmask_b32_e64 v15, 0, -1, vcc_lo
	v_cmp_le_u32_e32 vcc_lo, s25, v12
	v_cndmask_b32_e64 v16, 0, -1, vcc_lo
	v_cmp_le_u32_e32 vcc_lo, s24, v4
	;; [unrolled: 2-line block ×3, first 2 shown]
	v_cndmask_b32_e64 v17, 0, -1, vcc_lo
	v_cmp_eq_u32_e32 vcc_lo, s25, v12
	v_cndmask_b32_e64 v4, v17, v4, s0
	v_cndmask_b32_e32 v12, v16, v15, vcc_lo
	v_add_co_u32 v15, vcc_lo, v11, 1
	v_add_co_ci_u32_e32 v16, vcc_lo, 0, v6, vcc_lo
	v_cmp_ne_u32_e32 vcc_lo, 0, v12
	v_cndmask_b32_e32 v5, v16, v14, vcc_lo
	v_cndmask_b32_e32 v12, v15, v13, vcc_lo
	v_cmp_ne_u32_e32 vcc_lo, 0, v4
	v_cndmask_b32_e32 v6, v6, v5, vcc_lo
	v_cndmask_b32_e32 v5, v11, v12, vcc_lo
.LBB0_4:                                ;   in Loop: Header=BB0_2 Depth=1
	s_andn2_saveexec_b32 s0, s1
	s_cbranch_execz .LBB0_6
; %bb.5:                                ;   in Loop: Header=BB0_2 Depth=1
	v_cvt_f32_u32_e32 v4, s24
	s_sub_i32 s1, 0, s24
	v_rcp_iflag_f32_e32 v4, v4
	v_mul_f32_e32 v4, 0x4f7ffffe, v4
	v_cvt_u32_f32_e32 v4, v4
	v_mul_lo_u32 v5, s1, v4
	v_mul_hi_u32 v5, v4, v5
	v_add_nc_u32_e32 v4, v4, v5
	v_mul_hi_u32 v4, v9, v4
	v_mul_lo_u32 v5, v4, s24
	v_add_nc_u32_e32 v6, 1, v4
	v_sub_nc_u32_e32 v5, v9, v5
	v_subrev_nc_u32_e32 v11, s24, v5
	v_cmp_le_u32_e32 vcc_lo, s24, v5
	v_cndmask_b32_e32 v5, v5, v11, vcc_lo
	v_cndmask_b32_e32 v4, v4, v6, vcc_lo
	v_cmp_le_u32_e32 vcc_lo, s24, v5
	v_add_nc_u32_e32 v6, 1, v4
	v_cndmask_b32_e32 v5, v4, v6, vcc_lo
	v_mov_b32_e32 v6, v3
.LBB0_6:                                ;   in Loop: Header=BB0_2 Depth=1
	s_or_b32 exec_lo, exec_lo, s0
	v_mul_lo_u32 v4, v6, s24
	v_mul_lo_u32 v13, v5, s25
	s_load_dwordx2 s[0:1], s[6:7], 0x0
	v_mad_u64_u32 v[11:12], null, v5, s24, 0
	s_load_dwordx2 s[24:25], s[2:3], 0x0
	s_add_u32 s22, s22, 1
	s_addc_u32 s23, s23, 0
	s_add_u32 s2, s2, 8
	s_addc_u32 s3, s3, 0
	s_add_u32 s6, s6, 8
	v_add3_u32 v4, v12, v13, v4
	v_sub_co_u32 v9, vcc_lo, v9, v11
	s_addc_u32 s7, s7, 0
	s_add_u32 s20, s20, 8
	v_sub_co_ci_u32_e32 v4, vcc_lo, v10, v4, vcc_lo
	s_addc_u32 s21, s21, 0
	s_waitcnt lgkmcnt(0)
	v_mul_lo_u32 v10, s0, v4
	v_mul_lo_u32 v11, s1, v9
	v_mad_u64_u32 v[7:8], null, s0, v9, v[7:8]
	v_mul_lo_u32 v4, s24, v4
	v_mul_lo_u32 v12, s25, v9
	v_mad_u64_u32 v[1:2], null, s24, v9, v[1:2]
	v_cmp_ge_u64_e64 s0, s[22:23], s[14:15]
	v_add3_u32 v8, v11, v8, v10
	v_add3_u32 v2, v12, v2, v4
	s_and_b32 vcc_lo, exec_lo, s0
	s_cbranch_vccnz .LBB0_9
; %bb.7:                                ;   in Loop: Header=BB0_2 Depth=1
	v_mov_b32_e32 v10, v6
	v_mov_b32_e32 v9, v5
	s_branch .LBB0_2
.LBB0_8:
	v_mov_b32_e32 v1, v7
	v_mov_b32_e32 v5, v9
	;; [unrolled: 1-line block ×4, first 2 shown]
.LBB0_9:
	s_load_dwordx2 s[0:1], s[4:5], 0x28
	v_mul_hi_u32 v4, 0x1e1e1e2, v0
	s_lshl_b64 s[4:5], s[14:15], 3
                                        ; implicit-def: $vgpr3
	s_add_u32 s2, s18, s4
	s_addc_u32 s3, s19, s5
	s_waitcnt lgkmcnt(0)
	v_cmp_gt_u64_e32 vcc_lo, s[0:1], v[5:6]
	v_cmp_le_u64_e64 s0, s[0:1], v[5:6]
	s_and_saveexec_b32 s1, s0
	s_xor_b32 s0, exec_lo, s1
; %bb.10:
	v_mul_u32_u24_e32 v3, 0x88, v4
                                        ; implicit-def: $vgpr4
                                        ; implicit-def: $vgpr7_vgpr8
	v_sub_nc_u32_e32 v3, v0, v3
                                        ; implicit-def: $vgpr0
; %bb.11:
	s_andn2_saveexec_b32 s1, s0
	s_cbranch_execz .LBB0_13
; %bb.12:
	s_add_u32 s4, s16, s4
	s_addc_u32 s5, s17, s5
	v_lshlrev_b64 v[7:8], 2, v[7:8]
	s_load_dwordx2 s[4:5], s[4:5], 0x0
	s_waitcnt lgkmcnt(0)
	v_mul_lo_u32 v3, s5, v5
	v_mul_lo_u32 v11, s4, v6
	v_mad_u64_u32 v[9:10], null, s4, v5, 0
	v_add3_u32 v10, v10, v11, v3
	v_mul_u32_u24_e32 v3, 0x88, v4
	v_lshlrev_b64 v[9:10], 2, v[9:10]
	v_sub_nc_u32_e32 v3, v0, v3
	v_lshlrev_b32_e32 v15, 2, v3
	v_add_co_u32 v0, s0, s8, v9
	v_add_co_ci_u32_e64 v4, s0, s9, v10, s0
	v_add_co_u32 v0, s0, v0, v7
	v_add_co_ci_u32_e64 v4, s0, v4, v8, s0
	;; [unrolled: 2-line block ×6, first 2 shown]
	s_clause 0xc
	global_load_dword v0, v[7:8], off
	global_load_dword v4, v[7:8], off offset:544
	global_load_dword v16, v[7:8], off offset:1088
	;; [unrolled: 1-line block ×12, first 2 shown]
	v_add_nc_u32_e32 v13, 0, v15
	v_add_nc_u32_e32 v14, 0x400, v13
	;; [unrolled: 1-line block ×6, first 2 shown]
	s_waitcnt vmcnt(11)
	ds_write2_b32 v13, v0, v4 offset1:136
	s_waitcnt vmcnt(9)
	ds_write2_b32 v14, v16, v7 offset0:16 offset1:152
	s_waitcnt vmcnt(7)
	ds_write2_b32 v15, v8, v17 offset0:32 offset1:168
	;; [unrolled: 2-line block ×5, first 2 shown]
	s_waitcnt vmcnt(0)
	ds_write_b32 v13, v12 offset:6528
.LBB0_13:
	s_or_b32 exec_lo, exec_lo, s1
	v_lshl_add_u32 v0, v3, 2, 0
	s_waitcnt lgkmcnt(0)
	s_barrier
	buffer_gl0_inv
	v_mov_b32_e32 v87, 0xb964
	ds_read2_b32 v[11:12], v0 offset1:104
	ds_read_b32 v31, v0 offset:6656
	v_add_nc_u32_e32 v4, 0x1600, v0
	v_add_nc_u32_e32 v7, 0x200, v0
	;; [unrolled: 1-line block ×4, first 2 shown]
	ds_read2_b32 v[13:14], v4 offset0:48 offset1:152
	ds_read2_b32 v[19:20], v7 offset0:80 offset1:184
	;; [unrolled: 1-line block ×4, first 2 shown]
	v_add_nc_u32_e32 v29, 0x800, v0
	v_add_nc_u32_e32 v9, 0x1000, v0
	v_mov_b32_e32 v71, 0xbb29
	v_mov_b32_e32 v85, 0xbbf7
	ds_read2_b32 v[23:24], v29 offset0:112 offset1:216
	ds_read2_b32 v[21:22], v9 offset0:16 offset1:120
	v_mov_b32_e32 v75, 0xba62
	v_mov_b32_e32 v81, 0xb1e1
	;; [unrolled: 1-line block ×5, first 2 shown]
	v_add_nc_u32_e32 v30, 0xc00, v0
	v_mov_b32_e32 v112, 0x3b29
	s_waitcnt lgkmcnt(6)
	v_pk_add_f16 v35, v12, v31 neg_lo:[0,1] neg_hi:[0,1]
	v_pk_add_f16 v40, v31, v12
	v_mov_b32_e32 v101, 0x3964
	v_mov_b32_e32 v111, 0xb5c8
	s_waitcnt lgkmcnt(4)
	v_pk_add_f16 v34, v19, v14 neg_lo:[0,1] neg_hi:[0,1]
	v_mul_f16_sdwa v47, v35, v87 dst_sel:DWORD dst_unused:UNUSED_PAD src0_sel:WORD_1 src1_sel:DWORD
	v_mul_f16_sdwa v55, v35, v71 dst_sel:DWORD dst_unused:UNUSED_PAD src0_sel:WORD_1 src1_sel:DWORD
	v_pk_add_f16 v39, v14, v19
	v_pk_add_f16 v33, v20, v13 neg_lo:[0,1] neg_hi:[0,1]
	v_mul_f16_sdwa v50, v34, v85 dst_sel:DWORD dst_unused:UNUSED_PAD src0_sel:WORD_1 src1_sel:DWORD
	v_fma_f16 v7, v40, 0x39e9, -v47
	v_lshrrev_b32_e32 v99, 16, v40
	v_pk_add_f16 v38, v13, v20
	s_waitcnt lgkmcnt(2)
	v_pk_add_f16 v32, v17, v16 neg_lo:[0,1] neg_hi:[0,1]
	v_fma_f16 v8, v40, 0x3722, -v55
	v_mul_f16_sdwa v57, v34, v75 dst_sel:DWORD dst_unused:UNUSED_PAD src0_sel:WORD_1 src1_sel:DWORD
	v_mul_f16_sdwa v49, v33, v75 dst_sel:DWORD dst_unused:UNUSED_PAD src0_sel:WORD_1 src1_sel:DWORD
	v_add_f16_e32 v7, v11, v7
	v_fma_f16 v10, v39, 0x2de8, -v50
	v_mul_f16_e32 v64, 0x39e9, v99
	v_lshrrev_b32_e32 v100, 16, v39
	v_mul_f16_sdwa v56, v33, v4 dst_sel:DWORD dst_unused:UNUSED_PAD src0_sel:WORD_1 src1_sel:DWORD
	v_add_f16_e32 v4, v11, v8
	v_fma_f16 v8, v39, 0xb8d2, -v57
	v_fma_f16 v25, v38, 0xb8d2, -v49
	v_add_f16_e32 v7, v10, v7
	v_pk_add_f16 v41, v16, v17
	v_mul_f16_sdwa v51, v32, v81 dst_sel:DWORD dst_unused:UNUSED_PAD src0_sel:WORD_1 src1_sel:DWORD
	v_pk_add_f16 v36, v18, v15 neg_lo:[0,1] neg_hi:[0,1]
	v_fmamk_f16 v27, v35, 0xb964, v64
	v_mul_f16_e32 v65, 0x2de8, v100
	v_fma_f16 v10, v38, 0xbbdd, -v56
	v_add_f16_e32 v4, v8, v4
	v_add_f16_e32 v7, v25, v7
	v_fma_f16 v8, v41, 0xbbdd, -v51
	v_pk_add_f16 v43, v15, v18
	v_mul_f16_sdwa v52, v36, v114 dst_sel:DWORD dst_unused:UNUSED_PAD src0_sel:WORD_1 src1_sel:DWORD
	s_waitcnt lgkmcnt(0)
	v_pk_add_f16 v37, v23, v22 neg_lo:[0,1] neg_hi:[0,1]
	v_add_f16_sdwa v27, v11, v27 dst_sel:DWORD dst_unused:UNUSED_PAD src0_sel:WORD_1 src1_sel:DWORD
	v_fmamk_f16 v28, v34, 0xbbf7, v65
	v_mul_f16_e32 v73, 0x3722, v99
	v_mul_f16_sdwa v77, v35, v85 dst_sel:DWORD dst_unused:UNUSED_PAD src0_sel:WORD_1 src1_sel:DWORD
	v_add_f16_e32 v4, v10, v4
	v_add_f16_e32 v7, v8, v7
	v_fma_f16 v10, v43, 0xbacd, -v52
	v_pk_add_f16 v45, v22, v23
	v_mul_f16_sdwa v54, v37, v95 dst_sel:DWORD dst_unused:UNUSED_PAD src0_sel:WORD_1 src1_sel:DWORD
	ds_read2_b32 v[25:26], v30 offset0:64 offset1:168
	v_pk_add_f16 v42, v24, v21 neg_lo:[0,1] neg_hi:[0,1]
	v_add_f16_e32 v27, v28, v27
	v_fmamk_f16 v28, v35, 0xbb29, v73
	v_mul_f16_e32 v74, 0xb8d2, v100
	v_fma_f16 v66, v40, 0x2de8, -v77
	v_mul_f16_sdwa v79, v34, v81 dst_sel:DWORD dst_unused:UNUSED_PAD src0_sel:WORD_1 src1_sel:DWORD
	v_mul_f16_e32 v93, 0x2de8, v99
	v_add_f16_e32 v7, v10, v7
	v_fma_f16 v10, v45, 0xb461, -v54
	v_pk_add_f16 v46, v21, v24
	v_mul_f16_sdwa v53, v42, v112 dst_sel:DWORD dst_unused:UNUSED_PAD src0_sel:WORD_1 src1_sel:DWORD
	v_add_f16_sdwa v28, v11, v28 dst_sel:DWORD dst_unused:UNUSED_PAD src0_sel:WORD_1 src1_sel:DWORD
	v_fmamk_f16 v67, v34, 0xba62, v74
	v_add_f16_e32 v66, v11, v66
	v_fma_f16 v68, v39, 0xbbdd, -v79
	v_fmamk_f16 v69, v35, 0xbbf7, v93
	v_mul_f16_e32 v94, 0xbbdd, v100
	v_lshrrev_b32_e32 v105, 16, v38
	v_add_f16_e32 v7, v10, v7
	v_fma_f16 v10, v46, 0x3722, -v53
	v_add_f16_e32 v28, v67, v28
	v_add_f16_e32 v66, v68, v66
	v_add_f16_sdwa v67, v11, v69 dst_sel:DWORD dst_unused:UNUSED_PAD src0_sel:WORD_1 src1_sel:DWORD
	v_fmamk_f16 v69, v34, 0xb1e1, v94
	v_mul_f16_e32 v68, 0xb8d2, v105
	v_mul_f16_e32 v76, 0xbbdd, v105
	v_mul_f16_sdwa v80, v33, v95 dst_sel:DWORD dst_unused:UNUSED_PAD src0_sel:WORD_1 src1_sel:DWORD
	v_mul_f16_e32 v96, 0xb461, v105
	v_add_f16_e32 v7, v10, v7
	v_mov_b32_e32 v10, 0x35c8
	v_add_f16_e32 v67, v69, v67
	v_fmamk_f16 v69, v33, 0xba62, v68
	v_fmamk_f16 v70, v33, 0x31e1, v76
	v_fma_f16 v72, v38, 0xb461, -v80
	v_fmamk_f16 v78, v33, 0x3bb2, v96
	v_lshrrev_b32_e32 v107, 16, v41
	s_waitcnt lgkmcnt(0)
	v_pk_add_f16 v44, v25, v26 neg_lo:[0,1] neg_hi:[0,1]
	v_add_f16_e32 v27, v69, v27
	v_add_f16_e32 v28, v70, v28
	;; [unrolled: 1-line block ×4, first 2 shown]
	v_mul_f16_e32 v66, 0xbbdd, v107
	v_mul_f16_e32 v78, 0xb461, v107
	v_mul_f16_sdwa v82, v32, v10 dst_sel:DWORD dst_unused:UNUSED_PAD src0_sel:WORD_1 src1_sel:DWORD
	v_lshrrev_b32_e32 v108, 16, v43
	v_mul_f16_sdwa v58, v44, v10 dst_sel:DWORD dst_unused:UNUSED_PAD src0_sel:WORD_1 src1_sel:DWORD
	v_fmamk_f16 v10, v32, 0xb1e1, v66
	v_fmamk_f16 v72, v32, 0x3bb2, v78
	v_fma_f16 v83, v41, 0x3b76, -v82
	v_mul_f16_e32 v67, 0xbacd, v108
	v_mul_f16_e32 v98, 0x3b76, v107
	v_add_f16_e32 v10, v10, v27
	v_add_f16_e32 v27, v72, v28
	;; [unrolled: 1-line block ×3, first 2 shown]
	v_fmamk_f16 v69, v36, 0x3836, v67
	v_lshrrev_b32_e32 v110, 16, v45
	v_mul_f16_sdwa v59, v32, v95 dst_sel:DWORD dst_unused:UNUSED_PAD src0_sel:WORD_1 src1_sel:DWORD
	v_fmamk_f16 v84, v32, 0x35c8, v98
	v_mul_f16_e32 v83, 0x39e9, v108
	v_mul_f16_e32 v102, 0x3722, v108
	v_add_f16_e32 v10, v69, v10
	v_mul_f16_e32 v69, 0xb461, v110
	v_fma_f16 v8, v41, 0xb461, -v59
	v_mul_f16_sdwa v60, v36, v101 dst_sel:DWORD dst_unused:UNUSED_PAD src0_sel:WORD_1 src1_sel:DWORD
	v_mov_b32_e32 v113, 0xb836
	v_add_f16_e32 v70, v84, v70
	v_mul_f16_sdwa v88, v36, v71 dst_sel:DWORD dst_unused:UNUSED_PAD src0_sel:WORD_1 src1_sel:DWORD
	v_fmamk_f16 v72, v36, 0x3964, v83
	v_fmamk_f16 v89, v36, 0xbb29, v102
	v_mul_f16_e32 v84, 0x3b76, v110
	v_fmamk_f16 v90, v37, 0x3bb2, v69
	v_add_f16_e32 v4, v8, v4
	v_fma_f16 v8, v43, 0x39e9, -v60
	v_mul_f16_sdwa v63, v37, v111 dst_sel:DWORD dst_unused:UNUSED_PAD src0_sel:WORD_1 src1_sel:DWORD
	v_fma_f16 v86, v43, 0x3722, -v88
	v_add_f16_e32 v27, v72, v27
	v_add_f16_e32 v72, v89, v70
	v_fmamk_f16 v70, v37, 0xb5c8, v84
	v_add_f16_e32 v10, v90, v10
	v_mul_f16_sdwa v90, v37, v113 dst_sel:DWORD dst_unused:UNUSED_PAD src0_sel:WORD_1 src1_sel:DWORD
	v_mul_f16_e32 v103, 0xbacd, v110
	v_lshrrev_b32_e32 v106, 16, v46
	v_mov_b32_e32 v115, 0x3a62
	v_add_f16_e32 v4, v8, v4
	v_fma_f16 v8, v45, 0x3b76, -v63
	v_mul_f16_sdwa v61, v42, v85 dst_sel:DWORD dst_unused:UNUSED_PAD src0_sel:WORD_1 src1_sel:DWORD
	v_pk_add_f16 v48, v26, v25
	v_add_f16_e32 v28, v86, v28
	v_add_f16_e32 v27, v70, v27
	v_fma_f16 v89, v45, 0xbacd, -v90
	v_fmamk_f16 v92, v37, 0xb836, v103
	v_mul_f16_e32 v70, 0x3722, v106
	v_mul_f16_e32 v86, 0x2de8, v106
	v_mul_f16_sdwa v91, v42, v115 dst_sel:DWORD dst_unused:UNUSED_PAD src0_sel:WORD_1 src1_sel:DWORD
	v_add_f16_e32 v4, v8, v4
	v_fma_f16 v8, v46, 0x2de8, -v61
	v_add_f16_e32 v28, v89, v28
	v_add_f16_e32 v116, v92, v72
	v_fmamk_f16 v72, v42, 0x3b29, v70
	v_fmamk_f16 v89, v42, 0xbbf7, v86
	v_fma_f16 v92, v46, 0xb8d2, -v91
	v_mul_f16_e32 v104, 0xb8d2, v106
	v_lshrrev_b32_e32 v109, 16, v48
	v_add_f16_e32 v4, v8, v4
	v_fma_f16 v8, v48, 0x3b76, -v58
	v_mul_f16_sdwa v62, v44, v113 dst_sel:DWORD dst_unused:UNUSED_PAD src0_sel:WORD_1 src1_sel:DWORD
	v_add_f16_e32 v10, v72, v10
	v_add_f16_e32 v27, v89, v27
	;; [unrolled: 1-line block ×3, first 2 shown]
	v_fmamk_f16 v28, v42, 0x3a62, v104
	v_mul_f16_e32 v72, 0x3b76, v109
	v_mul_f16_e32 v89, 0xbacd, v109
	;; [unrolled: 1-line block ×3, first 2 shown]
	v_mul_f16_sdwa v92, v44, v101 dst_sel:DWORD dst_unused:UNUSED_PAD src0_sel:WORD_1 src1_sel:DWORD
	v_add_f16_e32 v8, v8, v7
	v_fma_f16 v7, v48, 0xbacd, -v62
	v_add_f16_e32 v116, v28, v116
	v_fmamk_f16 v28, v44, 0x35c8, v72
	v_fmamk_f16 v118, v44, 0xb836, v89
	;; [unrolled: 1-line block ×3, first 2 shown]
	v_fma_f16 v120, v48, 0x39e9, -v92
	v_add_f16_e32 v7, v7, v4
	v_add_f16_e32 v4, v28, v10
	;; [unrolled: 1-line block ×5, first 2 shown]
	s_mov_b32 s1, exec_lo
	s_barrier
	buffer_gl0_inv
	v_cmpx_gt_u32_e32 0x68, v3
	s_cbranch_execz .LBB0_15
; %bb.14:
	v_mul_f16_e32 v116, 0xbbb2, v35
	v_mov_b32_e32 v117, 0xbbb2
	v_mul_f16_e32 v118, 0x3836, v34
	v_mul_f16_e32 v119, 0x3964, v33
	v_mul_f16_sdwa v114, v34, v114 dst_sel:DWORD dst_unused:UNUSED_PAD src0_sel:WORD_1 src1_sel:DWORD
	v_fmamk_f16 v121, v99, 0xb461, v116
	v_mul_f16_sdwa v122, v35, v117 dst_sel:DWORD dst_unused:UNUSED_PAD src0_sel:WORD_1 src1_sel:DWORD
	v_fmamk_f16 v124, v100, 0xbacd, v118
	v_mul_f16_e32 v120, 0xbb29, v32
	v_mul_f16_sdwa v123, v33, v101 dst_sel:DWORD dst_unused:UNUSED_PAD src0_sel:WORD_1 src1_sel:DWORD
	v_add_f16_sdwa v121, v11, v121 dst_sel:DWORD dst_unused:UNUSED_PAD src0_sel:WORD_1 src1_sel:DWORD
	v_fma_f16 v126, v40, 0xb461, -v122
	v_mul_f16_sdwa v127, v32, v71 dst_sel:DWORD dst_unused:UNUSED_PAD src0_sel:WORD_1 src1_sel:DWORD
	v_fmamk_f16 v71, v105, 0x39e9, v119
	v_mul_f16_e32 v125, 0xb1e1, v36
	v_add_f16_e32 v121, v124, v121
	v_fma_f16 v124, v39, 0xbacd, -v114
	v_add_f16_e32 v126, v11, v126
	v_fmamk_f16 v129, v107, 0x3722, v120
	v_fmamk_f16 v130, v108, 0xbbdd, v125
	v_add_f16_e32 v71, v71, v121
	v_fma_f16 v121, v38, 0x39e9, -v123
	v_add_f16_e32 v124, v124, v126
	v_mul_f16_sdwa v126, v36, v81 dst_sel:DWORD dst_unused:UNUSED_PAD src0_sel:WORD_1 src1_sel:DWORD
	v_mul_f16_e32 v128, 0x3bf7, v37
	v_add_f16_e32 v71, v129, v71
	v_fma_f16 v129, v41, 0x3722, -v127
	v_add_f16_e32 v121, v121, v124
	v_mov_b32_e32 v124, 0x3bf7
	v_fmamk_f16 v131, v110, 0x2de8, v128
	v_add_f16_e32 v71, v130, v71
	v_fma_f16 v130, v43, 0xbbdd, -v126
	v_add_f16_e32 v121, v129, v121
	v_mul_f16_e32 v129, 0xb5c8, v42
	v_mul_f16_sdwa v132, v37, v124 dst_sel:DWORD dst_unused:UNUSED_PAD src0_sel:WORD_1 src1_sel:DWORD
	v_add_f16_e32 v71, v131, v71
	v_mul_f16_e32 v134, 0xba62, v44
	v_add_f16_e32 v121, v130, v121
	v_mul_f16_e32 v130, 0xba62, v35
	v_fmamk_f16 v131, v106, 0x3b76, v129
	v_fma_f16 v133, v45, 0x2de8, -v132
	v_mul_f16_sdwa v135, v42, v111 dst_sel:DWORD dst_unused:UNUSED_PAD src0_sel:WORD_1 src1_sel:DWORD
	v_mul_f16_e32 v137, 0x3bb2, v34
	v_fmamk_f16 v136, v99, 0xb8d2, v130
	v_add_f16_e32 v71, v131, v71
	v_add_f16_e32 v121, v133, v121
	v_fmamk_f16 v131, v109, 0xb8d2, v134
	v_mul_f16_e32 v138, 0xb5c8, v33
	v_add_f16_sdwa v133, v11, v136 dst_sel:DWORD dst_unused:UNUSED_PAD src0_sel:WORD_1 src1_sel:DWORD
	v_fmamk_f16 v136, v100, 0xb461, v137
	v_fma_f16 v139, v46, 0x3b76, -v135
	v_mul_f16_sdwa v140, v44, v75 dst_sel:DWORD dst_unused:UNUSED_PAD src0_sel:WORD_1 src1_sel:DWORD
	v_add_f16_e32 v71, v131, v71
	v_mul_f16_sdwa v141, v35, v75 dst_sel:DWORD dst_unused:UNUSED_PAD src0_sel:WORD_1 src1_sel:DWORD
	v_add_f16_e32 v131, v136, v133
	v_fmamk_f16 v133, v105, 0x3b76, v138
	v_mul_f16_e32 v136, 0xb836, v32
	v_add_f16_e32 v121, v139, v121
	v_fma_f16 v139, v48, 0xb8d2, -v140
	v_mul_f16_e32 v142, 0x3bf7, v36
	v_add_f16_e32 v131, v133, v131
	v_fmamk_f16 v133, v107, 0xbacd, v136
	v_mul_f16_sdwa v144, v33, v111 dst_sel:DWORD dst_unused:UNUSED_PAD src0_sel:WORD_1 src1_sel:DWORD
	v_add_f16_e32 v75, v139, v121
	v_fma_f16 v121, v40, 0xb8d2, -v141
	v_mul_f16_sdwa v139, v34, v95 dst_sel:DWORD dst_unused:UNUSED_PAD src0_sel:WORD_1 src1_sel:DWORD
	v_add_f16_e32 v95, v133, v131
	v_fmamk_f16 v131, v108, 0x2de8, v142
	v_mul_f16_e32 v133, 0xb964, v37
	v_add_f16_e32 v121, v11, v121
	v_fma_f16 v143, v39, 0xb461, -v139
	v_mul_f16_e32 v145, 0xb1e1, v42
	v_add_f16_e32 v95, v131, v95
	v_fmamk_f16 v131, v110, 0x39e9, v133
	v_mul_f16_sdwa v146, v32, v113 dst_sel:DWORD dst_unused:UNUSED_PAD src0_sel:WORD_1 src1_sel:DWORD
	v_add_f16_e32 v121, v143, v121
	v_fma_f16 v143, v38, 0x3b76, -v144
	v_mul_f16_e32 v147, 0x3b29, v44
	v_add_f16_e32 v95, v131, v95
	v_fmamk_f16 v131, v106, 0xbbdd, v145
	v_mul_f16_sdwa v124, v36, v124 dst_sel:DWORD dst_unused:UNUSED_PAD src0_sel:WORD_1 src1_sel:DWORD
	;; [unrolled: 6-line block ×3, first 2 shown]
	v_add_f16_e32 v121, v143, v121
	v_fma_f16 v143, v43, 0x2de8, -v124
	v_mul_f16_sdwa v150, v42, v81 dst_sel:DWORD dst_unused:UNUSED_PAD src0_sel:WORD_1 src1_sel:DWORD
	v_add_f16_e32 v87, v131, v95
	v_fmamk_f16 v95, v99, 0xbacd, v148
	v_mul_f16_e32 v131, 0x3b29, v34
	v_add_f16_e32 v121, v143, v121
	v_fma_f16 v143, v45, 0x39e9, -v149
	v_mul_f16_e32 v152, 0xbbf7, v33
	v_add_f16_sdwa v95, v11, v95 dst_sel:DWORD dst_unused:UNUSED_PAD src0_sel:WORD_1 src1_sel:DWORD
	v_fmamk_f16 v151, v100, 0x3722, v131
	v_mul_f16_sdwa v153, v44, v112 dst_sel:DWORD dst_unused:UNUSED_PAD src0_sel:WORD_1 src1_sel:DWORD
	v_add_f16_e32 v121, v143, v121
	v_fma_f16 v143, v46, 0xbbdd, -v150
	v_mul_f16_e32 v154, 0x3a62, v32
	v_add_f16_e32 v95, v151, v95
	v_fmamk_f16 v151, v105, 0x2de8, v152
	v_mul_f16_sdwa v113, v35, v113 dst_sel:DWORD dst_unused:UNUSED_PAD src0_sel:WORD_1 src1_sel:DWORD
	v_add_f16_e32 v121, v143, v121
	v_fma_f16 v143, v48, 0x3722, -v153
	v_fmamk_f16 v155, v107, 0xb8d2, v154
	v_add_f16_e32 v151, v151, v95
	v_mul_f16_e32 v156, 0xb5c8, v36
	v_mul_f16_sdwa v112, v34, v112 dst_sel:DWORD dst_unused:UNUSED_PAD src0_sel:WORD_1 src1_sel:DWORD
	v_add_f16_e32 v95, v143, v121
	v_fma_f16 v121, v40, 0xbacd, -v113
	v_add_f16_e32 v143, v155, v151
	v_fmamk_f16 v151, v108, 0x3b76, v156
	v_mul_f16_e32 v155, 0xb1e1, v37
	v_fma_f16 v157, v39, 0x3722, -v112
	v_add_f16_e32 v121, v11, v121
	v_mul_f16_sdwa v85, v33, v85 dst_sel:DWORD dst_unused:UNUSED_PAD src0_sel:WORD_1 src1_sel:DWORD
	v_add_f16_e32 v143, v151, v143
	v_fmamk_f16 v151, v110, 0xbbdd, v155
	v_mul_f16_e32 v158, 0x3964, v42
	v_add_f16_e32 v121, v157, v121
	v_fma_f16 v157, v38, 0x2de8, -v85
	v_mul_f16_sdwa v115, v32, v115 dst_sel:DWORD dst_unused:UNUSED_PAD src0_sel:WORD_1 src1_sel:DWORD
	v_fmac_f16_e32 v113, 0xbacd, v40
	v_add_f16_e32 v143, v151, v143
	v_fmamk_f16 v151, v106, 0x39e9, v158
	v_fma_f16 v148, v99, 0xbacd, -v148
	v_add_f16_e32 v121, v157, v121
	v_fma_f16 v157, v41, 0xb8d2, -v115
	v_mul_f16_sdwa v111, v36, v111 dst_sel:DWORD dst_unused:UNUSED_PAD src0_sel:WORD_1 src1_sel:DWORD
	v_add_f16_e32 v113, v11, v113
	v_fmac_f16_e32 v112, 0x3722, v39
	v_add_f16_e32 v143, v151, v143
	v_add_f16_sdwa v148, v11, v148 dst_sel:DWORD dst_unused:UNUSED_PAD src0_sel:WORD_1 src1_sel:DWORD
	v_fma_f16 v131, v100, 0x3722, -v131
	v_add_f16_e32 v121, v157, v121
	v_fma_f16 v151, v43, 0x3b76, -v111
	v_mul_f16_sdwa v157, v37, v81 dst_sel:DWORD dst_unused:UNUSED_PAD src0_sel:WORD_1 src1_sel:DWORD
	v_add_f16_e32 v112, v112, v113
	v_fmac_f16_e32 v85, 0x2de8, v38
	v_add_f16_e32 v81, v131, v148
	v_add_f16_e32 v121, v151, v121
	v_fma_f16 v148, v45, 0xbbdd, -v157
	v_mul_f16_sdwa v101, v42, v101 dst_sel:DWORD dst_unused:UNUSED_PAD src0_sel:WORD_1 src1_sel:DWORD
	v_add_f16_e32 v112, v85, v112
	v_fmac_f16_e32 v115, 0xb8d2, v41
	v_mul_f16_sdwa v117, v44, v117 dst_sel:DWORD dst_unused:UNUSED_PAD src0_sel:WORD_1 src1_sel:DWORD
	v_add_f16_e32 v121, v148, v121
	v_fma_f16 v148, v46, 0x39e9, -v101
	v_fma_f16 v130, v99, 0xb8d2, -v130
	v_add_f16_e32 v112, v115, v112
	v_fmac_f16_e32 v111, 0x3b76, v43
	v_fma_f16 v99, v99, 0xb461, -v116
	v_mul_f16_e32 v159, 0xbbb2, v44
	v_fma_f16 v131, v105, 0x2de8, -v152
	v_add_f16_e32 v121, v148, v121
	v_fma_f16 v148, v48, 0xb461, -v117
	v_add_f16_sdwa v130, v11, v130 dst_sel:DWORD dst_unused:UNUSED_PAD src0_sel:WORD_1 src1_sel:DWORD
	v_fma_f16 v137, v100, 0xb461, -v137
	v_add_f16_e32 v111, v111, v112
	v_fmac_f16_e32 v157, 0xbbdd, v45
	v_fma_f16 v100, v100, 0xbacd, -v118
	v_add_f16_sdwa v99, v11, v99 dst_sel:DWORD dst_unused:UNUSED_PAD src0_sel:WORD_1 src1_sel:DWORD
	v_fmamk_f16 v151, v109, 0xb461, v159
	v_add_f16_e32 v131, v131, v81
	v_fma_f16 v152, v107, 0xb8d2, -v154
	v_add_f16_e32 v85, v148, v121
	v_add_f16_e32 v121, v137, v130
	v_fma_f16 v130, v105, 0x3b76, -v138
	v_add_f16_e32 v111, v157, v111
	v_fmac_f16_e32 v101, 0x39e9, v46
	v_add_f16_e32 v99, v100, v99
	v_fma_f16 v100, v105, 0x39e9, -v119
	v_add_f16_e32 v81, v151, v143
	v_add_f16_e32 v131, v152, v131
	v_fma_f16 v143, v108, 0x3b76, -v156
	v_add_f16_e32 v121, v130, v121
	v_fma_f16 v130, v107, 0xbacd, -v136
	v_add_f16_e32 v101, v101, v111
	v_fmac_f16_e32 v117, 0xb461, v48
	v_add_f16_e32 v99, v100, v99
	v_fma_f16 v107, v107, 0x3722, -v120
	v_add_f16_e32 v131, v143, v131
	v_fma_f16 v143, v110, 0xbbdd, -v155
	;; [unrolled: 2-line block ×3, first 2 shown]
	v_add_f16_e32 v101, v117, v101
	v_add_f16_e32 v99, v107, v99
	v_fmac_f16_e32 v122, 0xb461, v40
	v_fma_f16 v108, v108, 0xbbdd, -v125
	v_mul_f16_e32 v117, 0xbbf7, v35
	v_add_f16_e32 v113, v143, v131
	v_fma_f16 v131, v106, 0x39e9, -v158
	v_fmac_f16_e32 v141, 0xb8d2, v40
	v_add_f16_e32 v121, v130, v121
	v_fma_f16 v130, v110, 0x39e9, -v133
	v_add_f16_e32 v119, v11, v122
	v_fmac_f16_e32 v114, 0xbacd, v39
	v_add_f16_e32 v99, v108, v99
	v_fma_f16 v110, v110, 0x2de8, -v128
	v_mul_f16_e32 v120, 0xb1e1, v34
	v_sub_f16_e32 v93, v93, v117
	v_add_f16_e32 v113, v131, v113
	v_fma_f16 v115, v109, 0xb461, -v159
	v_add_f16_e32 v112, v11, v141
	v_fmac_f16_e32 v139, 0xb461, v39
	v_mul_f16_e32 v107, 0x2de8, v40
	v_add_f16_e32 v114, v114, v119
	v_fmac_f16_e32 v123, 0x39e9, v38
	v_sub_f16_e32 v94, v94, v120
	v_add_f16_sdwa v93, v11, v93 dst_sel:DWORD dst_unused:UNUSED_PAD src0_sel:WORD_1 src1_sel:DWORD
	v_add_f16_e32 v99, v110, v99
	v_mul_f16_e32 v110, 0x3bb2, v33
	v_add_f16_e32 v112, v139, v112
	v_fmac_f16_e32 v144, 0x3b76, v38
	v_add_f16_e32 v113, v115, v113
	v_fma_f16 v115, v106, 0xbbdd, -v145
	v_mul_f16_e32 v116, 0xbb29, v35
	v_mul_f16_e32 v120, 0xbbdd, v39
	v_add_f16_e32 v114, v123, v114
	v_add_f16_e32 v93, v94, v93
	v_fmac_f16_e32 v127, 0x3722, v41
	v_sub_f16_e32 v96, v96, v110
	v_fma_f16 v106, v106, 0x3b76, -v129
	v_mul_f16_e32 v122, 0x35c8, v32
	v_add_f16_e32 v77, v107, v77
	v_add_f16_e32 v111, v144, v112
	;; [unrolled: 1-line block ×3, first 2 shown]
	v_mul_f16_e32 v117, 0xba62, v34
	v_add_f16_e32 v114, v127, v114
	v_add_f16_e32 v93, v96, v93
	v_mul_f16_e32 v96, 0xb461, v38
	v_fmac_f16_e32 v126, 0xbbdd, v43
	v_sub_f16_e32 v98, v98, v122
	v_add_f16_e32 v99, v106, v99
	v_mul_f16_e32 v106, 0xbb29, v36
	v_add_f16_e32 v79, v120, v79
	v_add_f16_e32 v77, v11, v77
	v_sub_f16_e32 v73, v73, v116
	v_add_f16_e32 v112, v115, v112
	v_fma_f16 v115, v109, 0x3722, -v147
	v_mul_f16_e32 v123, 0x31e1, v33
	v_add_f16_e32 v114, v126, v114
	v_add_f16_e32 v93, v98, v93
	v_sub_f16_e32 v102, v102, v106
	v_mul_f16_e32 v125, 0xb836, v37
	v_mul_f16_e32 v126, 0x3b76, v41
	v_add_f16_e32 v77, v79, v77
	v_add_f16_e32 v80, v96, v80
	v_sub_f16_e32 v74, v74, v117
	v_add_f16_sdwa v73, v11, v73 dst_sel:DWORD dst_unused:UNUSED_PAD src0_sel:WORD_1 src1_sel:DWORD
	v_add_f16_e32 v105, v115, v112
	v_mul_f16_e32 v115, 0x3722, v40
	v_mul_f16_e32 v106, 0x3bb2, v32
	v_add_f16_e32 v93, v102, v93
	v_sub_f16_e32 v103, v103, v125
	v_mul_f16_e32 v127, 0x3a62, v42
	v_mul_f16_e32 v107, 0x3722, v43
	v_add_f16_e32 v77, v80, v77
	v_add_f16_e32 v82, v126, v82
	;; [unrolled: 1-line block ×3, first 2 shown]
	v_sub_f16_e32 v76, v76, v123
	v_mul_f16_e32 v119, 0xb8d2, v39
	v_add_f16_e32 v93, v103, v93
	v_mul_f16_e32 v103, 0x3964, v36
	v_sub_f16_e32 v104, v104, v127
	v_mul_f16_e32 v79, 0xbacd, v45
	v_add_f16_e32 v77, v82, v77
	v_add_f16_e32 v88, v107, v88
	;; [unrolled: 1-line block ×3, first 2 shown]
	v_sub_f16_e32 v78, v78, v106
	v_add_f16_e32 v55, v115, v55
	v_mul_f16_e32 v100, 0xb964, v35
	v_mul_f16_e32 v110, 0xbbdd, v38
	v_add_f16_e32 v93, v104, v93
	v_mul_f16_e32 v104, 0xb5c8, v37
	v_mul_f16_e32 v126, 0xb8d2, v46
	v_add_f16_e32 v77, v88, v77
	v_add_f16_e32 v79, v79, v90
	;; [unrolled: 1-line block ×3, first 2 shown]
	v_sub_f16_e32 v78, v83, v103
	v_add_f16_e32 v55, v11, v55
	v_add_f16_e32 v57, v119, v57
	v_fmac_f16_e32 v146, 0xbacd, v41
	v_mul_f16_e32 v108, 0xbbf7, v34
	v_mul_f16_e32 v98, 0xb461, v41
	v_fma_f16 v109, v109, 0xb8d2, -v134
	v_mul_f16_e32 v80, 0xbbf7, v42
	v_add_f16_e32 v77, v79, v77
	v_add_f16_e32 v79, v126, v91
	;; [unrolled: 1-line block ×3, first 2 shown]
	v_sub_f16_e32 v78, v84, v104
	v_add_f16_e32 v55, v57, v55
	v_add_f16_e32 v56, v110, v56
	v_sub_f16_e32 v64, v64, v100
	v_add_f16_e32 v111, v146, v111
	v_fmac_f16_e32 v124, 0x2de8, v43
	v_mul_f16_e32 v94, 0xba62, v33
	v_add_f16_e32 v99, v109, v99
	v_mul_f16_e32 v109, 0x39e9, v43
	v_mul_f16_e32 v107, 0xb836, v44
	;; [unrolled: 1-line block ×3, first 2 shown]
	v_add_f16_e32 v57, v79, v77
	v_add_f16_e32 v73, v78, v73
	v_sub_f16_e32 v77, v86, v80
	v_add_f16_e32 v55, v56, v55
	v_add_f16_e32 v56, v98, v59
	v_add_f16_sdwa v64, v11, v64 dst_sel:DWORD dst_unused:UNUSED_PAD src0_sel:WORD_1 src1_sel:DWORD
	v_sub_f16_e32 v65, v65, v108
	v_pk_add_f16 v12, v11, v12
	v_add_f16_e32 v111, v124, v111
	v_mul_f16_e32 v112, 0x39e9, v40
	v_mul_f16_e32 v124, 0xb1e1, v32
	;; [unrolled: 1-line block ×3, first 2 shown]
	v_add_f16_e32 v59, v106, v92
	v_add_f16_e32 v73, v77, v73
	;; [unrolled: 1-line block ×4, first 2 shown]
	v_sub_f16_e32 v60, v89, v107
	v_add_f16_e32 v64, v65, v64
	v_sub_f16_e32 v65, v68, v94
	v_pk_add_f16 v12, v12, v19
	v_mul_f16_e32 v118, 0x2de8, v39
	v_mul_f16_e32 v125, 0x3836, v36
	v_add_f16_e32 v57, v59, v57
	v_add_f16_e32 v55, v56, v55
	;; [unrolled: 1-line block ×5, first 2 shown]
	v_sub_f16_e32 v63, v66, v124
	v_add_f16_e32 v47, v112, v47
	v_pk_add_f16 v12, v12, v20
	v_mul_f16_e32 v121, 0xb8d2, v38
	v_mul_f16_e32 v120, 0x3bb2, v37
	v_add_f16_e32 v19, v63, v60
	v_sub_f16_e32 v60, v67, v125
	v_add_f16_e32 v47, v11, v47
	v_add_f16_e32 v20, v118, v50
	v_pk_add_f16 v12, v12, v17
	v_mul_f16_e32 v122, 0xbbdd, v41
	v_mul_f16_e32 v96, 0x3b29, v42
	v_add_f16_e32 v19, v60, v19
	v_sub_f16_e32 v50, v69, v120
	v_add_f16_e32 v17, v20, v47
	;; [unrolled: 7-line block ×3, first 2 shown]
	v_add_f16_e32 v20, v122, v51
	v_pk_add_f16 v12, v12, v23
	v_pk_mul_f16 v23, 0xb5c8, v35 op_sel_hi:[0,1]
	v_add_f16_e32 v19, v47, v19
	v_sub_f16_e32 v47, v72, v123
	v_add_f16_e32 v17, v20, v17
	v_add_f16_e32 v20, v102, v52
	v_pk_add_f16 v12, v12, v24
	v_pk_fma_f16 v24, 0x3b76, v40, v23 op_sel:[0,0,1] op_sel_hi:[0,1,0]
	v_pk_fma_f16 v23, 0x3b76, v40, v23 op_sel:[0,0,1] op_sel_hi:[0,1,0] neg_lo:[0,0,1] neg_hi:[0,0,1]
	v_pk_mul_f16 v49, 0xb964, v34 op_sel_hi:[0,1]
	v_mul_f16_e32 v127, 0xb461, v45
	v_add_f16_e32 v19, v47, v19
	v_add_f16_e32 v17, v20, v17
	v_pk_add_f16 v12, v12, v25
	v_bfi_b32 v20, 0xffff, v24, v23
	v_pk_fma_f16 v25, 0x39e9, v39, v49 op_sel:[0,0,1] op_sel_hi:[0,1,0]
	v_pk_fma_f16 v47, 0x39e9, v39, v49 op_sel:[0,0,1] op_sel_hi:[0,1,0] neg_lo:[0,0,1] neg_hi:[0,0,1]
	v_pk_mul_f16 v49, 0xbb29, v33 op_sel_hi:[0,1]
	v_add_f16_e32 v50, v127, v54
	v_pk_add_f16 v12, v12, v26
	v_pk_add_f16 v20, v11, v20
	v_bfi_b32 v26, 0xffff, v25, v47
	v_pk_fma_f16 v51, 0x3722, v38, v49 op_sel:[0,0,1] op_sel_hi:[0,1,0]
	v_pk_fma_f16 v49, 0x3722, v38, v49 op_sel:[0,0,1] op_sel_hi:[0,1,0] neg_lo:[0,0,1] neg_hi:[0,0,1]
	v_pk_mul_f16 v52, 0xbbf7, v32 op_sel_hi:[0,1]
	v_mul_f16_e32 v116, 0x3722, v46
	v_mul_f16_e32 v117, 0x2de8, v46
	v_add_f16_e32 v17, v50, v17
	v_pk_add_f16 v12, v12, v21
	v_pk_add_f16 v20, v26, v20
	v_bfi_b32 v21, 0xffff, v51, v49
	v_pk_fma_f16 v26, 0x2de8, v41, v52 op_sel:[0,0,1] op_sel_hi:[0,1,0]
	v_pk_fma_f16 v50, 0x2de8, v41, v52 op_sel:[0,0,1] op_sel_hi:[0,1,0] neg_lo:[0,0,1] neg_hi:[0,0,1]
	v_pk_mul_f16 v52, 0xbbb2, v36 op_sel_hi:[0,1]
	v_mul_f16_e32 v82, 0xbacd, v48
	v_add_f16_e32 v55, v56, v55
	v_add_f16_e32 v56, v117, v61
	;; [unrolled: 1-line block ×3, first 2 shown]
	v_pk_add_f16 v12, v12, v22
	v_pk_add_f16 v20, v21, v20
	v_bfi_b32 v21, 0xffff, v26, v50
	v_pk_fma_f16 v22, 0xb461, v43, v52 op_sel:[0,0,1] op_sel_hi:[0,1,0]
	v_pk_fma_f16 v52, 0xb461, v43, v52 op_sel:[0,0,1] op_sel_hi:[0,1,0] neg_lo:[0,0,1] neg_hi:[0,0,1]
	v_pk_mul_f16 v54, 0xba62, v37 op_sel_hi:[0,1]
	v_add_f16_e32 v55, v56, v55
	v_add_f16_e32 v56, v82, v62
	;; [unrolled: 1-line block ×3, first 2 shown]
	v_pk_add_f16 v12, v12, v15
	v_pk_add_f16 v15, v21, v20
	v_bfi_b32 v20, 0xffff, v22, v52
	v_pk_fma_f16 v21, 0xb8d2, v45, v54 op_sel:[0,0,1] op_sel_hi:[0,1,0]
	v_pk_fma_f16 v53, 0xb8d2, v45, v54 op_sel:[0,0,1] op_sel_hi:[0,1,0] neg_lo:[0,0,1] neg_hi:[0,0,1]
	v_pk_mul_f16 v54, 0xb836, v42 op_sel_hi:[0,1]
	v_add_f16_e32 v18, v56, v55
	v_pk_add_f16 v12, v12, v16
	v_pk_add_f16 v15, v20, v15
	v_bfi_b32 v16, 0xffff, v21, v53
	v_pk_fma_f16 v20, 0xbacd, v46, v54 op_sel:[0,0,1] op_sel_hi:[0,1,0]
	v_pk_fma_f16 v54, 0xbacd, v46, v54 op_sel:[0,0,1] op_sel_hi:[0,1,0] neg_lo:[0,0,1] neg_hi:[0,0,1]
	v_pk_mul_f16 v56, 0xb1e1, v44 op_sel_hi:[0,1]
	v_fmac_f16_e32 v132, 0x2de8, v45
	v_mul_f16_e32 v74, 0x3b76, v48
	v_pk_add_f16 v12, v12, v13
	v_pk_mul_f16 v13, 0xbbdd, v40 op_sel_hi:[0,1]
	v_pk_add_f16 v15, v16, v15
	v_bfi_b32 v16, 0xffff, v20, v54
	v_pk_fma_f16 v40, 0xbbdd, v48, v56 op_sel:[0,0,1] op_sel_hi:[0,1,0]
	v_pk_fma_f16 v56, 0xbbdd, v48, v56 op_sel:[0,0,1] op_sel_hi:[0,1,0] neg_lo:[0,0,1] neg_hi:[0,0,1]
	v_add_f16_e32 v114, v132, v114
	v_fmac_f16_e32 v135, 0x3b76, v46
	v_mul_f16_e32 v76, 0x3964, v44
	v_add_f16_e32 v55, v74, v58
	v_pk_add_f16 v12, v12, v14
	v_pk_add_f16 v14, v16, v15
	v_bfi_b32 v15, 0xffff, v40, v56
	v_add_f16_e32 v114, v135, v114
	v_fmac_f16_e32 v140, 0xb8d2, v48
	v_sub_f16_e32 v76, v97, v76
	v_lshl_add_u32 v61, v3, 6, v0
	v_pk_add_f16 v12, v12, v31
	v_pk_add_f16 v14, v15, v14
	v_add_f16_e32 v17, v55, v17
	v_add_f16_e32 v114, v140, v114
	;; [unrolled: 1-line block ×3, first 2 shown]
	v_pk_fma_f16 v58, 0xb1e1, v35, v13 op_sel:[0,0,1] op_sel_hi:[0,1,0]
	v_alignbit_b32 v60, s0, v11, 16
	v_pk_mul_f16 v39, 0x3b76, v39 op_sel_hi:[0,1]
	ds_write2_b32 v61, v12, v14 offset1:1
	v_pack_b32_f16 v12, v18, v59
	v_pack_b32_f16 v17, v17, v19
	v_pk_mul_f16 v31, 0x39e9, v41 op_sel_hi:[0,1]
	v_pack_b32_f16 v19, v57, v76
	v_pack_b32_f16 v41, v114, v99
	v_pk_add_f16 v16, v60, v58
	v_pk_fma_f16 v60, 0x35c8, v34, v39 op_sel:[0,0,1] op_sel_hi:[0,1,0]
	v_pk_mul_f16 v38, 0xbacd, v38 op_sel_hi:[0,1]
	ds_write2_b32 v61, v17, v12 offset0:2 offset1:3
	ds_write2_b32 v61, v19, v41 offset0:4 offset1:5
	v_pk_fma_f16 v13, 0xb1e1, v35, v13 op_sel:[0,0,1] op_sel_hi:[0,1,0] neg_lo:[0,1,0] neg_hi:[0,1,0]
	v_alignbit_b32 v41, s0, v58, 16
	v_pk_add_f16 v15, v60, v16
	v_pk_fma_f16 v16, 0xb836, v33, v38 op_sel:[0,0,1] op_sel_hi:[0,1,0]
	v_pk_fma_f16 v34, 0x35c8, v34, v39 op_sel:[0,0,1] op_sel_hi:[0,1,0] neg_lo:[0,1,0] neg_hi:[0,1,0]
	v_pk_add_f16 v13, v11, v13 op_sel:[1,0] op_sel_hi:[0,1]
	v_pk_add_f16 v39, v11, v41
	v_alignbit_b32 v41, s0, v60, 16
	v_pk_add_f16 v14, v16, v15
	v_pk_fma_f16 v15, 0x3964, v32, v31 op_sel:[0,0,1] op_sel_hi:[0,1,0]
	v_pk_mul_f16 v18, 0xb8d2, v43 op_sel_hi:[0,1]
	v_pk_add_f16 v13, v34, v13
	v_pk_add_f16 v34, v41, v39
	v_alignbit_b32 v16, s0, v16, 16
	v_bfi_b32 v23, 0xffff, v23, v24
	v_pk_fma_f16 v33, 0xb836, v33, v38 op_sel:[0,0,1] op_sel_hi:[0,1,0] neg_lo:[0,1,0] neg_hi:[0,1,0]
	v_fmac_f16_e32 v149, 0x39e9, v45
	v_pk_add_f16 v14, v15, v14
	v_pk_fma_f16 v43, 0xba62, v36, v18 op_sel:[0,0,1] op_sel_hi:[0,1,0]
	v_pk_mul_f16 v45, 0x3722, v45 op_sel_hi:[0,1]
	v_pk_add_f16 v16, v16, v34
	v_alignbit_b32 v15, s0, v15, 16
	v_pk_add_f16 v11, v11, v23
	v_bfi_b32 v23, 0xffff, v47, v25
	v_pk_add_f16 v13, v33, v13
	v_pk_fma_f16 v24, 0x3964, v32, v31 op_sel:[0,0,1] op_sel_hi:[0,1,0] neg_lo:[0,1,0] neg_hi:[0,1,0]
	v_add_f16_e32 v111, v149, v111
	v_fmac_f16_e32 v150, 0xbbdd, v46
	v_pk_add_f16 v14, v43, v14
	v_pk_fma_f16 v17, 0x3b29, v37, v45 op_sel:[0,0,1] op_sel_hi:[0,1,0]
	v_pk_add_f16 v15, v15, v16
	v_alignbit_b32 v16, s0, v43, 16
	v_pk_add_f16 v11, v23, v11
	v_bfi_b32 v23, 0xffff, v49, v51
	v_pk_mul_f16 v19, 0xb461, v46 op_sel_hi:[0,1]
	v_pk_add_f16 v13, v24, v13
	v_pk_fma_f16 v18, 0xba62, v36, v18 op_sel:[0,0,1] op_sel_hi:[0,1,0] neg_lo:[0,1,0] neg_hi:[0,1,0]
	v_add_f16_e32 v111, v150, v111
	v_fmac_f16_e32 v153, 0x3722, v48
	v_pk_add_f16 v14, v17, v14
	v_pk_add_f16 v15, v16, v15
	v_alignbit_b32 v16, s0, v17, 16
	v_pk_add_f16 v11, v23, v11
	v_bfi_b32 v17, 0xffff, v50, v26
	v_pk_fma_f16 v46, 0xbbb2, v42, v19 op_sel:[0,0,1] op_sel_hi:[0,1,0]
	v_pk_mul_f16 v48, 0x2de8, v48 op_sel_hi:[0,1]
	v_pk_add_f16 v13, v18, v13
	v_pk_fma_f16 v18, 0x3b29, v37, v45 op_sel:[0,0,1] op_sel_hi:[0,1,0] neg_lo:[0,1,0] neg_hi:[0,1,0]
	v_add_f16_e32 v111, v153, v111
	v_pk_add_f16 v11, v17, v11
	v_bfi_b32 v17, 0xffff, v52, v22
	v_pk_fma_f16 v38, 0x3bf7, v44, v48 op_sel:[0,0,1] op_sel_hi:[0,1,0]
	v_pk_add_f16 v13, v18, v13
	v_pk_fma_f16 v18, 0xbbb2, v42, v19 op_sel:[0,0,1] op_sel_hi:[0,1,0] neg_lo:[0,1,0] neg_hi:[0,1,0]
	v_pk_add_f16 v15, v16, v15
	v_alignbit_b32 v16, s0, v46, 16
	v_pack_b32_f16 v12, v101, v113
	v_pack_b32_f16 v35, v111, v105
	v_pk_add_f16 v11, v17, v11
	v_bfi_b32 v17, 0xffff, v53, v21
	v_pk_add_f16 v14, v46, v14
	v_pk_add_f16 v13, v18, v13
	v_pk_fma_f16 v18, 0x3bf7, v44, v48 op_sel:[0,0,1] op_sel_hi:[0,1,0] neg_lo:[0,1,0] neg_hi:[0,1,0]
	v_pk_add_f16 v15, v16, v15
	v_alignbit_b32 v16, s0, v38, 16
	ds_write2_b32 v61, v35, v12 offset0:6 offset1:7
	v_pk_add_f16 v11, v17, v11
	v_bfi_b32 v12, 0xffff, v54, v20
	v_pk_add_f16 v14, v38, v14
	v_pk_add_f16 v13, v18, v13
	v_pk_add_f16 v15, v16, v15
	v_pack_b32_f16 v16, v85, v81
	v_pk_add_f16 v11, v12, v11
	v_bfi_b32 v12, 0xffff, v56, v40
	v_alignbit_b32 v14, v14, v13, 16
	v_pack_b32_f16 v13, v15, v13
	v_pack_b32_f16 v15, v95, v87
	;; [unrolled: 1-line block ×3, first 2 shown]
	v_perm_b32 v18, v27, v10, 0x5040100
	v_perm_b32 v19, v4, v8, 0x5040100
	;; [unrolled: 1-line block ×3, first 2 shown]
	v_pk_add_f16 v11, v12, v11
	ds_write2_b32 v61, v13, v14 offset0:8 offset1:9
	ds_write2_b32 v61, v16, v15 offset0:10 offset1:11
	;; [unrolled: 1-line block ×4, first 2 shown]
	ds_write_b32 v61, v11 offset:64
.LBB0_15:
	s_or_b32 exec_lo, exec_lo, s1
	v_and_b32_e32 v11, 0xff, v3
	v_mov_b32_e32 v12, 12
	s_load_dwordx2 s[2:3], s[2:3], 0x0
	s_waitcnt lgkmcnt(0)
	s_barrier
	v_mul_lo_u16 v11, 0xf1, v11
	buffer_gl0_inv
	v_add_nc_u32_e32 v13, 0x400, v0
	v_cmp_gt_u32_e64 s0, 0x55, v3
	v_lshrrev_b16 v15, 12, v11
	v_mul_lo_u16 v11, v15, 17
	v_sub_nc_u16 v16, v3, v11
	v_mul_u32_u24_sdwa v11, v16, v12 dst_sel:DWORD dst_unused:UNUSED_PAD src0_sel:BYTE_0 src1_sel:DWORD
	v_lshlrev_b32_e32 v11, 2, v11
	s_clause 0x2
	global_load_dwordx4 v[22:25], v11, s[12:13]
	global_load_dwordx4 v[33:36], v11, s[12:13] offset:16
	global_load_dwordx4 v[37:40], v11, s[12:13] offset:32
	ds_read2_b32 v[41:42], v29 offset0:32 offset1:168
	ds_read2_b32 v[43:44], v30 offset0:48 offset1:184
	;; [unrolled: 1-line block ×3, first 2 shown]
	v_add_nc_u32_e32 v9, 0x1400, v0
	ds_read_b32 v49, v0 offset:6528
	ds_read2_b32 v[11:12], v0 offset1:136
	ds_read2_b32 v[47:48], v9 offset0:80 offset1:216
	ds_read2_b32 v[31:32], v13 offset0:16 offset1:152
	s_waitcnt vmcnt(0) lgkmcnt(0)
	s_barrier
	buffer_gl0_inv
	v_lshrrev_b32_e32 v20, 16, v42
	v_lshrrev_b32_e32 v26, 16, v43
	;; [unrolled: 1-line block ×12, first 2 shown]
	v_mul_f16_sdwa v60, v22, v54 dst_sel:DWORD dst_unused:UNUSED_PAD src0_sel:WORD_1 src1_sel:DWORD
	v_mul_f16_sdwa v61, v22, v12 dst_sel:DWORD dst_unused:UNUSED_PAD src0_sel:WORD_1 src1_sel:DWORD
	;; [unrolled: 1-line block ×3, first 2 shown]
	v_mul_f16_sdwa v29, v20, v33 dst_sel:DWORD dst_unused:UNUSED_PAD src0_sel:DWORD src1_sel:WORD_1
	v_mul_f16_sdwa v67, v42, v33 dst_sel:DWORD dst_unused:UNUSED_PAD src0_sel:DWORD src1_sel:WORD_1
	v_fmac_f16_e32 v60, v22, v12
	v_mul_f16_sdwa v63, v23, v31 dst_sel:DWORD dst_unused:UNUSED_PAD src0_sel:WORD_1 src1_sel:DWORD
	v_mul_f16_sdwa v64, v24, v59 dst_sel:DWORD dst_unused:UNUSED_PAD src0_sel:WORD_1 src1_sel:DWORD
	v_mul_f16_sdwa v9, v26, v34 dst_sel:DWORD dst_unused:UNUSED_PAD src0_sel:DWORD src1_sel:WORD_1
	v_mul_f16_sdwa v68, v43, v34 dst_sel:DWORD dst_unused:UNUSED_PAD src0_sel:DWORD src1_sel:WORD_1
	v_fma_f16 v54, v22, v54, -v61
	v_fmac_f16_e32 v62, v23, v31
	v_fmac_f16_e32 v29, v42, v33
	v_fma_f16 v31, v20, v33, -v67
	v_add_f16_e32 v33, v60, v11
	v_mul_f16_sdwa v65, v24, v32 dst_sel:DWORD dst_unused:UNUSED_PAD src0_sel:WORD_1 src1_sel:DWORD
	v_mul_f16_sdwa v30, v25, v55 dst_sel:DWORD dst_unused:UNUSED_PAD src0_sel:WORD_1 src1_sel:DWORD
	v_mul_f16_sdwa v14, v52, v37 dst_sel:DWORD dst_unused:UNUSED_PAD src0_sel:DWORD src1_sel:WORD_1
	v_fma_f16 v57, v23, v57, -v63
	v_fmac_f16_e32 v64, v24, v32
	v_fmac_f16_e32 v9, v43, v34
	v_fma_f16 v12, v26, v34, -v68
	v_add_f16_sdwa v34, v54, v11 dst_sel:DWORD dst_unused:UNUSED_PAD src0_sel:DWORD src1_sel:WORD_1
	v_add_f16_e32 v33, v33, v62
	v_mul_f16_sdwa v66, v25, v41 dst_sel:DWORD dst_unused:UNUSED_PAD src0_sel:WORD_1 src1_sel:DWORD
	v_mul_f16_sdwa v21, v51, v36 dst_sel:DWORD dst_unused:UNUSED_PAD src0_sel:DWORD src1_sel:WORD_1
	v_mul_f16_sdwa v71, v46, v37 dst_sel:DWORD dst_unused:UNUSED_PAD src0_sel:DWORD src1_sel:WORD_1
	;; [unrolled: 1-line block ×5, first 2 shown]
	v_fma_f16 v59, v24, v59, -v65
	v_fmac_f16_e32 v30, v25, v41
	v_fmac_f16_e32 v14, v46, v37
	v_add_f16_e32 v34, v34, v57
	v_add_f16_e32 v33, v33, v64
	v_mul_f16_sdwa v69, v44, v35 dst_sel:DWORD dst_unused:UNUSED_PAD src0_sel:DWORD src1_sel:WORD_1
	v_mul_f16_sdwa v70, v45, v36 dst_sel:DWORD dst_unused:UNUSED_PAD src0_sel:DWORD src1_sel:WORD_1
	;; [unrolled: 1-line block ×5, first 2 shown]
	v_fma_f16 v32, v25, v55, -v66
	v_fmac_f16_e32 v21, v45, v36
	v_fma_f16 v25, v52, v37, -v71
	v_fmac_f16_e32 v17, v47, v38
	v_fmac_f16_e32 v19, v49, v40
	v_fma_f16 v22, v53, v40, -v74
	v_add_f16_e32 v47, v30, v14
	v_sub_f16_e32 v49, v30, v14
	v_add_f16_e32 v34, v34, v59
	v_add_f16_e32 v30, v33, v30
	v_mul_f16_sdwa v13, v50, v35 dst_sel:DWORD dst_unused:UNUSED_PAD src0_sel:DWORD src1_sel:WORD_1
	v_fma_f16 v20, v50, v35, -v69
	v_fma_f16 v26, v51, v36, -v70
	;; [unrolled: 1-line block ×3, first 2 shown]
	v_fmac_f16_e32 v18, v48, v39
	v_fma_f16 v23, v58, v39, -v73
	v_add_f16_e32 v36, v54, v22
	v_sub_f16_e32 v38, v54, v22
	v_add_f16_e32 v48, v32, v25
	v_sub_f16_e32 v50, v32, v25
	;; [unrolled: 2-line block ×3, first 2 shown]
	v_add_f16_e32 v32, v34, v32
	v_add_f16_e32 v29, v30, v29
	v_fmac_f16_e32 v13, v44, v35
	v_add_f16_e32 v35, v60, v19
	v_sub_f16_e32 v37, v60, v19
	v_add_f16_e32 v39, v62, v18
	v_add_f16_e32 v40, v57, v23
	v_sub_f16_e32 v41, v62, v18
	v_sub_f16_e32 v42, v57, v23
	v_mul_f16_e32 v56, 0xb770, v38
	v_mul_f16_e32 v57, 0x3b15, v36
	v_mul_f16_e32 v58, 0xba95, v38
	v_mul_f16_e32 v60, 0x388b, v36
	v_mul_f16_e32 v61, 0xbbf1, v38
	v_mul_f16_e32 v62, 0x2fb7, v36
	v_mul_f16_e32 v63, 0xbb7b, v38
	v_add_f16_e32 v30, v32, v31
	v_add_f16_e32 v29, v29, v9
	;; [unrolled: 1-line block ×4, first 2 shown]
	v_sub_f16_e32 v45, v64, v17
	v_sub_f16_e32 v46, v59, v24
	v_mul_f16_e32 v65, 0xb5ac, v36
	v_mul_f16_e32 v66, 0xb94e, v38
	;; [unrolled: 1-line block ×12, first 2 shown]
	v_fmamk_f16 v59, v35, 0x3b15, v56
	v_fmamk_f16 v64, v37, 0x3770, v57
	v_fma_f16 v56, v35, 0x3b15, -v56
	v_fmac_f16_e32 v57, 0xb770, v37
	v_fmamk_f16 v108, v35, 0x388b, v58
	v_fmamk_f16 v109, v37, 0x3a95, v60
	v_fma_f16 v58, v35, 0x388b, -v58
	v_fmac_f16_e32 v60, 0xba95, v37
	v_fmamk_f16 v110, v35, 0x2fb7, v61
	v_fmamk_f16 v111, v37, 0x3bf1, v62
	v_fma_f16 v61, v35, 0x2fb7, -v61
	v_fmamk_f16 v112, v35, 0xb5ac, v63
	v_fma_f16 v63, v35, 0xb5ac, -v63
	v_add_f16_e32 v30, v30, v12
	v_add_f16_e32 v29, v29, v13
	v_mul_f16_e32 v75, 0xb9fd, v40
	v_mul_f16_e32 v76, 0x3bf1, v42
	v_mul_f16_e32 v77, 0x2fb7, v40
	v_mul_f16_e32 v42, 0x3770, v42
	v_mul_f16_e32 v40, 0x3b15, v40
	v_mul_f16_e32 v78, 0xbbf1, v46
	v_mul_f16_e32 v79, 0x2fb7, v44
	v_mul_f16_e32 v81, 0xbbc4, v44
	v_mul_f16_e32 v82, 0x3b7b, v46
	v_mul_f16_e32 v83, 0xb5ac, v44
	v_mul_f16_e32 v84, 0x3770, v46
	v_fmac_f16_e32 v62, 0xbbf1, v37
	v_fmamk_f16 v113, v37, 0x3b7b, v65
	v_fmac_f16_e32 v65, 0xbb7b, v37
	v_fmamk_f16 v114, v35, 0xb9fd, v66
	v_fmamk_f16 v115, v37, 0x394e, v67
	v_fma_f16 v66, v35, 0xb9fd, -v66
	v_fmac_f16_e32 v67, 0xb94e, v37
	v_fmamk_f16 v116, v35, 0xbbc4, v38
	v_fmamk_f16 v117, v37, 0x33a8, v36
	v_fma_f16 v35, v35, 0xbbc4, -v38
	;; [unrolled: 4-line block ×5, first 2 shown]
	v_fmamk_f16 v122, v39, 0xb9fd, v74
	v_fma_f16 v74, v39, 0xb9fd, -v74
	v_add_f16_e32 v33, v59, v11
	v_add_f16_sdwa v34, v64, v11 dst_sel:DWORD dst_unused:UNUSED_PAD src0_sel:DWORD src1_sel:WORD_1
	v_add_f16_e32 v56, v56, v11
	v_add_f16_sdwa v57, v57, v11 dst_sel:DWORD dst_unused:UNUSED_PAD src0_sel:DWORD src1_sel:WORD_1
	;; [unrolled: 2-line block ×4, first 2 shown]
	v_add_f16_sdwa v109, v111, v11 dst_sel:DWORD dst_unused:UNUSED_PAD src0_sel:DWORD src1_sel:WORD_1
	v_add_f16_e32 v61, v61, v11
	v_add_f16_e32 v63, v63, v11
	;; [unrolled: 1-line block ×5, first 2 shown]
	v_sub_f16_e32 v54, v31, v26
	v_mul_f16_e32 v80, 0xb3a8, v46
	v_mul_f16_e32 v85, 0x3b15, v44
	;; [unrolled: 1-line block ×10, first 2 shown]
	v_fmac_f16_e32 v73, 0xb3a8, v41
	v_fmamk_f16 v123, v41, 0xb94e, v75
	v_fmac_f16_e32 v75, 0x394e, v41
	v_fmamk_f16 v124, v39, 0x2fb7, v76
	v_fmamk_f16 v125, v41, 0xbbf1, v77
	v_fma_f16 v76, v39, 0x2fb7, -v76
	v_fmac_f16_e32 v77, 0x3bf1, v41
	v_fmamk_f16 v126, v39, 0x3b15, v42
	v_fmamk_f16 v127, v41, 0xb770, v40
	v_fma_f16 v39, v39, 0x3b15, -v42
	v_fmac_f16_e32 v40, 0x3770, v41
	v_fmamk_f16 v41, v43, 0x2fb7, v78
	v_fmamk_f16 v42, v45, 0x3bf1, v79
	v_fmac_f16_e32 v79, 0xbbf1, v45
	v_fmamk_f16 v129, v45, 0x33a8, v81
	v_fmac_f16_e32 v81, 0xb3a8, v45
	v_fmamk_f16 v130, v43, 0xb5ac, v82
	v_fmamk_f16 v131, v45, 0xbb7b, v83
	v_fma_f16 v82, v43, 0xb5ac, -v82
	v_fmamk_f16 v132, v43, 0x3b15, v84
	v_fma_f16 v84, v43, 0x3b15, -v84
	v_add_f16_e32 v108, v110, v11
	v_add_f16_sdwa v62, v62, v11 dst_sel:DWORD dst_unused:UNUSED_PAD src0_sel:DWORD src1_sel:WORD_1
	v_add_f16_e32 v110, v112, v11
	v_add_f16_sdwa v111, v113, v11 dst_sel:DWORD dst_unused:UNUSED_PAD src0_sel:DWORD src1_sel:WORD_1
	v_add_f16_sdwa v65, v65, v11 dst_sel:DWORD dst_unused:UNUSED_PAD src0_sel:DWORD src1_sel:WORD_1
	v_add_f16_e32 v112, v114, v11
	v_add_f16_sdwa v113, v115, v11 dst_sel:DWORD dst_unused:UNUSED_PAD src0_sel:DWORD src1_sel:WORD_1
	v_add_f16_e32 v66, v66, v11
	;; [unrolled: 2-line block ×5, first 2 shown]
	v_add_f16_e32 v32, v38, v34
	v_add_f16_e32 v33, v68, v56
	;; [unrolled: 1-line block ×12, first 2 shown]
	v_mul_f16_e32 v88, 0xbb7b, v50
	v_mul_f16_e32 v90, 0x394e, v50
	;; [unrolled: 1-line block ×12, first 2 shown]
	v_fma_f16 v78, v43, 0x2fb7, -v78
	v_fmamk_f16 v128, v43, 0xbbc4, v80
	v_fma_f16 v80, v43, 0xbbc4, -v80
	v_fmamk_f16 v134, v43, 0x388b, v86
	v_fma_f16 v86, v43, 0x388b, -v86
	v_fmamk_f16 v136, v43, 0xb9fd, v46
	v_fmamk_f16 v137, v45, 0x394e, v44
	v_fma_f16 v43, v43, 0xb9fd, -v46
	v_fmac_f16_e32 v44, 0xb94e, v45
	v_fmamk_f16 v46, v49, 0x3b7b, v89
	v_fmac_f16_e32 v89, 0xbb7b, v49
	v_fmamk_f16 v139, v49, 0xb94e, v91
	;; [unrolled: 2-line block ×3, first 2 shown]
	v_fmamk_f16 v142, v47, 0x2fb7, v94
	v_fma_f16 v94, v47, 0x2fb7, -v94
	v_add_f16_e32 v35, v39, v35
	v_add_f16_e32 v11, v40, v11
	v_add_f16_e32 v31, v41, v31
	v_add_f16_e32 v32, v42, v32
	v_add_f16_e32 v34, v79, v34
	v_add_f16_e32 v37, v129, v37
	v_add_f16_e32 v39, v81, v56
	v_add_f16_e32 v41, v131, v58
	v_add_f16_e32 v42, v82, v59
	v_add_f16_e32 v59, v84, v63
	v_add_f16_e32 v21, v26, v25
	v_add_f16_e32 v14, v14, v17
	v_sub_f16_e32 v55, v12, v20
	v_mul_f16_e32 v98, 0xb94e, v54
	v_mul_f16_e32 v105, 0xbbc4, v52
	;; [unrolled: 1-line block ×4, first 2 shown]
	v_fmac_f16_e32 v83, 0x3b7b, v45
	v_fmamk_f16 v133, v45, 0xb770, v85
	v_fmac_f16_e32 v85, 0x3770, v45
	v_fmamk_f16 v135, v45, 0x3a95, v87
	;; [unrolled: 2-line block ×3, first 2 shown]
	v_fma_f16 v88, v47, 0xb5ac, -v88
	v_fmamk_f16 v138, v47, 0xb9fd, v90
	v_fma_f16 v90, v47, 0xb9fd, -v90
	v_fmamk_f16 v140, v47, 0x3b15, v92
	;; [unrolled: 2-line block ×4, first 2 shown]
	v_fmamk_f16 v147, v49, 0xba95, v48
	v_fma_f16 v47, v47, 0x388b, -v50
	v_fmac_f16_e32 v48, 0x3a95, v49
	v_fmamk_f16 v50, v53, 0x394e, v99
	v_fmac_f16_e32 v99, 0xb94e, v53
	v_fmamk_f16 v149, v53, 0xbbf1, v101
	;; [unrolled: 2-line block ×3, first 2 shown]
	v_fmamk_f16 v152, v51, 0xbbc4, v104
	v_fma_f16 v104, v51, 0xbbc4, -v104
	v_add_f16_e32 v60, v73, v62
	v_add_f16_e32 v62, v123, v111
	;; [unrolled: 1-line block ×14, first 2 shown]
	v_mul_f16_e32 v100, 0x3bf1, v54
	v_mul_f16_e32 v102, 0xba95, v54
	;; [unrolled: 1-line block ×4, first 2 shown]
	v_fmac_f16_e32 v93, 0x3770, v49
	v_fmamk_f16 v143, v49, 0x3bf1, v95
	v_fmac_f16_e32 v95, 0xbbf1, v49
	v_fmamk_f16 v145, v49, 0xb3a8, v97
	;; [unrolled: 2-line block ×3, first 2 shown]
	v_add_f16_e32 v33, v78, v33
	v_add_f16_e32 v36, v128, v36
	;; [unrolled: 1-line block ×17, first 2 shown]
	v_fmamk_f16 v14, v53, 0x3b7b, v52
	v_add_f16_e32 v46, v9, v13
	v_mul_f16_e32 v23, 0xb3a8, v55
	v_add_f16_e32 v20, v12, v20
	v_fmac_f16_e32 v52, 0xbb7b, v53
	v_fma_f16 v98, v51, 0xb9fd, -v98
	v_fmamk_f16 v148, v51, 0x2fb7, v100
	v_add_f16_e32 v57, v120, v108
	v_add_f16_e32 v38, v80, v38
	;; [unrolled: 1-line block ×9, first 2 shown]
	v_fma_f16 v12, v51, 0xb5ac, -v54
	v_sub_f16_e32 v47, v9, v13
	v_fmamk_f16 v9, v46, 0xbbc4, v23
	v_mul_f16_e32 v13, 0xbbc4, v20
	v_add_f16_e32 v49, v52, v11
	v_mul_f16_e32 v11, 0x3770, v55
	v_fma_f16 v100, v51, 0x2fb7, -v100
	v_add_f16_e32 v61, v122, v110
	v_add_f16_e32 v64, v75, v65
	;; [unrolled: 1-line block ×9, first 2 shown]
	v_fmamk_f16 v9, v47, 0x33a8, v13
	v_fma_f16 v12, v46, 0xbbc4, -v23
	v_fmac_f16_e32 v13, 0xb3a8, v47
	v_mul_f16_e32 v14, 0x3b15, v20
	v_fmamk_f16 v24, v46, 0x3b15, v11
	v_fmamk_f16 v150, v51, 0x388b, v102
	v_fma_f16 v102, v51, 0x388b, -v102
	v_add_f16_e32 v65, v124, v112
	v_add_f16_e32 v67, v77, v67
	;; [unrolled: 1-line block ×11, first 2 shown]
	v_fmamk_f16 v12, v47, 0xb770, v14
	v_mul_f16_e32 v13, 0xb94e, v55
	v_add_f16_e32 v31, v24, v33
	v_fma_f16 v11, v46, 0x3b15, -v11
	v_fmac_f16_e32 v14, 0x3770, v47
	v_mul_f16_e32 v33, 0xb9fd, v20
	v_fmac_f16_e32 v103, 0xba95, v53
	v_fmamk_f16 v153, v53, 0xb3a8, v105
	v_fmac_f16_e32 v105, 0x33a8, v53
	v_add_f16_e32 v61, v134, v65
	v_add_f16_e32 v64, v87, v67
	;; [unrolled: 1-line block ×8, first 2 shown]
	v_fmamk_f16 v29, v46, 0xb9fd, v13
	v_add_f16_e32 v12, v11, v36
	v_add_f16_e32 v24, v14, v37
	v_mul_f16_e32 v14, 0x3a95, v55
	v_fmamk_f16 v11, v47, 0x394e, v33
	v_fma_f16 v13, v46, 0xb9fd, -v13
	v_mul_f16_e32 v36, 0x388b, v20
	v_fmamk_f16 v154, v51, 0x3b15, v106
	v_fmamk_f16 v155, v53, 0xb770, v107
	v_fma_f16 v106, v51, 0x3b15, -v106
	v_fmac_f16_e32 v107, 0x3770, v53
	v_add_f16_e32 v57, v144, v61
	v_add_f16_e32 v59, v96, v63
	;; [unrolled: 1-line block ×8, first 2 shown]
	v_fmac_f16_e32 v33, 0xb94e, v47
	v_fmamk_f16 v29, v46, 0x388b, v14
	v_add_f16_e32 v37, v11, v39
	v_add_f16_e32 v11, v13, v25
	v_fmamk_f16 v13, v47, 0xba95, v36
	v_mul_f16_e32 v25, 0xbb7b, v55
	v_fmac_f16_e32 v36, 0x3a95, v47
	v_mul_f16_e32 v38, 0xb5ac, v20
	v_add_f16_e32 v69, v126, v114
	v_add_f16_e32 v18, v154, v57
	;; [unrolled: 1-line block ×8, first 2 shown]
	v_fmamk_f16 v13, v46, 0xb5ac, v25
	v_add_f16_e32 v29, v36, v42
	v_fmamk_f16 v36, v47, 0x3b7b, v38
	v_fma_f16 v25, v46, 0xb5ac, -v25
	v_fmac_f16_e32 v38, 0xbb7b, v47
	v_add_f16_e32 v65, v136, v69
	v_add_f16_e32 v18, v13, v18
	v_mov_b32_e32 v40, 2
	v_add_f16_e32 v13, v25, v44
	v_add_f16_e32 v25, v38, v22
	v_mov_b32_e32 v38, 0x374
	v_fmamk_f16 v156, v51, 0xb5ac, v54
	v_add_f16_e32 v61, v146, v65
	v_fma_f16 v14, v46, 0x388b, -v14
	v_mul_f16_e32 v39, 0x3bf1, v55
	v_mul_f16_e32 v20, 0x2fb7, v20
	v_add_f16_e32 v43, v155, v58
	v_mul_u32_u24_sdwa v15, v15, v38 dst_sel:DWORD dst_unused:UNUSED_PAD src0_sel:WORD_0 src1_sel:DWORD
	v_lshlrev_b32_sdwa v16, v40, v16 dst_sel:DWORD dst_unused:UNUSED_PAD src0_sel:DWORD src1_sel:BYTE_0
	v_add_f16_e32 v45, v156, v61
	v_add_f16_e32 v14, v14, v41
	v_fmamk_f16 v22, v46, 0x2fb7, v39
	v_fmamk_f16 v41, v47, 0xbbf1, v20
	v_fma_f16 v39, v46, 0x2fb7, -v39
	v_fmac_f16_e32 v20, 0x3bf1, v47
	v_add_f16_e32 v36, v36, v43
	v_add3_u32 v15, 0, v15, v16
	v_pack_b32_f16 v16, v19, v17
	v_pack_b32_f16 v17, v50, v30
	v_add_f16_e32 v22, v22, v45
	v_add_f16_e32 v38, v41, v48
	;; [unrolled: 1-line block ×4, first 2 shown]
	v_pack_b32_f16 v19, v31, v32
	v_pack_b32_f16 v30, v34, v37
	ds_write2_b32 v15, v16, v17 offset1:17
	ds_write2_b32 v15, v19, v30 offset0:34 offset1:51
	v_pack_b32_f16 v16, v33, v21
	v_pack_b32_f16 v17, v18, v36
	;; [unrolled: 1-line block ×9, first 2 shown]
	ds_write2_b32 v15, v16, v17 offset0:68 offset1:85
	ds_write2_b32 v15, v18, v19 offset0:102 offset1:119
	;; [unrolled: 1-line block ×4, first 2 shown]
	ds_write_b32 v15, v31 offset:816
	v_add_nc_u32_e32 v30, 0x680, v0
	v_add_nc_u32_e32 v31, 0xd80, v0
	;; [unrolled: 1-line block ×3, first 2 shown]
	s_waitcnt lgkmcnt(0)
	s_barrier
	buffer_gl0_inv
	ds_read2_b32 v[15:16], v0 offset1:221
	ds_read2_b32 v[21:22], v30 offset0:26 offset1:247
	ds_read2_b32 v[19:20], v31 offset0:20 offset1:241
	;; [unrolled: 1-line block ×3, first 2 shown]
	s_and_saveexec_b32 s1, s0
	s_cbranch_execz .LBB0_17
; %bb.16:
	v_add_nc_u32_e32 v4, 0x200, v0
	v_add_nc_u32_e32 v7, 0x900, v0
	v_add_nc_u32_e32 v8, 0xf80, v0
	v_add_nc_u32_e32 v23, 0x1680, v0
	ds_read2_b32 v[13:14], v4 offset0:8 offset1:229
	ds_read2_b32 v[11:12], v7 offset0:2 offset1:223
	;; [unrolled: 1-line block ×4, first 2 shown]
	s_waitcnt lgkmcnt(3)
	v_lshrrev_b32_e32 v25, 16, v13
	s_waitcnt lgkmcnt(2)
	v_lshrrev_b32_e32 v26, 16, v11
	v_lshrrev_b32_e32 v24, 16, v12
	s_waitcnt lgkmcnt(1)
	v_lshrrev_b32_e32 v23, 16, v9
	;; [unrolled: 3-line block ×3, first 2 shown]
	v_lshrrev_b32_e32 v4, 16, v8
	v_lshrrev_b32_e32 v29, 16, v14
.LBB0_17:
	s_or_b32 exec_lo, exec_lo, s1
	v_mul_u32_u24_e32 v33, 7, v3
	s_waitcnt lgkmcnt(0)
	v_lshrrev_b32_e32 v41, 16, v18
	v_lshrrev_b32_e32 v42, 16, v17
	;; [unrolled: 1-line block ×4, first 2 shown]
	v_lshlrev_b32_e32 v37, 2, v33
	v_lshrrev_b32_e32 v45, 16, v16
	v_lshrrev_b32_e32 v46, 16, v22
	;; [unrolled: 1-line block ×4, first 2 shown]
	s_clause 0x1
	global_load_dwordx4 v[33:36], v37, s[12:13] offset:816
	global_load_dwordx3 v[37:39], v37, s[12:13] offset:832
	s_waitcnt vmcnt(0)
	s_barrier
	buffer_gl0_inv
	v_mul_f16_sdwa v48, v33, v45 dst_sel:DWORD dst_unused:UNUSED_PAD src0_sel:WORD_1 src1_sel:DWORD
	v_mul_f16_sdwa v49, v33, v16 dst_sel:DWORD dst_unused:UNUSED_PAD src0_sel:WORD_1 src1_sel:DWORD
	;; [unrolled: 1-line block ×14, first 2 shown]
	v_fmac_f16_e32 v48, v33, v16
	v_fma_f16 v16, v33, v45, -v49
	v_fmac_f16_e32 v50, v34, v21
	v_fma_f16 v21, v34, v47, -v51
	;; [unrolled: 2-line block ×7, first 2 shown]
	v_sub_f16_e32 v33, v15, v54
	v_sub_f16_e32 v19, v40, v19
	;; [unrolled: 1-line block ×8, first 2 shown]
	v_fma_f16 v15, v15, 2.0, -v33
	v_fma_f16 v37, v40, 2.0, -v19
	;; [unrolled: 1-line block ×8, first 2 shown]
	v_add_f16_e32 v17, v33, v17
	v_sub_f16_e32 v34, v19, v34
	v_add_f16_e32 v18, v35, v18
	v_sub_f16_e32 v36, v20, v36
	v_sub_f16_e32 v38, v15, v38
	;; [unrolled: 1-line block ×3, first 2 shown]
	v_fma_f16 v33, v33, 2.0, -v17
	v_fma_f16 v19, v19, 2.0, -v34
	v_sub_f16_e32 v40, v39, v40
	v_sub_f16_e32 v22, v16, v22
	v_fma_f16 v35, v35, 2.0, -v18
	v_fma_f16 v20, v20, 2.0, -v36
	v_fmamk_f16 v41, v18, 0x39a8, v17
	v_fmamk_f16 v42, v36, 0x39a8, v34
	v_fma_f16 v15, v15, 2.0, -v38
	v_fma_f16 v37, v37, 2.0, -v21
	;; [unrolled: 1-line block ×4, first 2 shown]
	v_fmamk_f16 v43, v35, 0xb9a8, v33
	v_fmamk_f16 v44, v20, 0xb9a8, v19
	v_add_f16_e32 v22, v38, v22
	v_sub_f16_e32 v40, v21, v40
	v_fmac_f16_e32 v41, 0x39a8, v36
	v_fmac_f16_e32 v42, 0xb9a8, v18
	v_sub_f16_e32 v18, v15, v39
	v_sub_f16_e32 v16, v37, v16
	v_fmac_f16_e32 v43, 0x39a8, v20
	v_fmac_f16_e32 v44, 0xb9a8, v35
	v_fma_f16 v20, v38, 2.0, -v22
	v_fma_f16 v21, v21, 2.0, -v40
	v_fma_f16 v17, v17, 2.0, -v41
	v_fma_f16 v34, v34, 2.0, -v42
	v_fma_f16 v15, v15, 2.0, -v18
	v_fma_f16 v35, v37, 2.0, -v16
	v_fma_f16 v33, v33, 2.0, -v43
	v_fma_f16 v19, v19, 2.0, -v44
	v_pack_b32_f16 v20, v20, v21
	v_pack_b32_f16 v17, v17, v34
	;; [unrolled: 1-line block ×8, first 2 shown]
	ds_write2_b32 v30, v20, v17 offset0:26 offset1:247
	ds_write2_b32 v31, v16, v18 offset0:20 offset1:241
	ds_write2_b32 v0, v15, v19 offset1:221
	ds_write2_b32 v32, v22, v21 offset0:14 offset1:235
	s_and_saveexec_b32 s1, s0
	s_cbranch_execz .LBB0_19
; %bb.18:
	v_add_nc_u32_e32 v15, 0x88, v3
	v_add_nc_u32_e32 v16, 0xffffffab, v3
	;; [unrolled: 1-line block ×5, first 2 shown]
	v_cndmask_b32_e64 v15, v16, v15, s0
	v_mov_b32_e32 v16, 0
	v_mul_i32_i24_e32 v15, 7, v15
	v_lshlrev_b64 v[15:16], 2, v[15:16]
	v_add_co_u32 v19, s0, s12, v15
	v_add_co_ci_u32_e64 v20, s0, s13, v16, s0
	s_clause 0x1
	global_load_dwordx4 v[15:18], v[19:20], off offset:816
	global_load_dwordx3 v[19:21], v[19:20], off offset:832
	s_waitcnt vmcnt(1)
	v_mul_f16_sdwa v32, v23, v18 dst_sel:DWORD dst_unused:UNUSED_PAD src0_sel:DWORD src1_sel:WORD_1
	v_mul_f16_sdwa v33, v11, v16 dst_sel:DWORD dst_unused:UNUSED_PAD src0_sel:DWORD src1_sel:WORD_1
	s_waitcnt vmcnt(0)
	v_mul_f16_sdwa v34, v7, v20 dst_sel:DWORD dst_unused:UNUSED_PAD src0_sel:DWORD src1_sel:WORD_1
	v_mul_f16_sdwa v35, v14, v15 dst_sel:DWORD dst_unused:UNUSED_PAD src0_sel:DWORD src1_sel:WORD_1
	;; [unrolled: 1-line block ×12, first 2 shown]
	v_fmac_f16_e32 v32, v9, v18
	v_fma_f16 v9, v26, v16, -v33
	v_fma_f16 v26, v28, v20, -v34
	;; [unrolled: 1-line block ×4, first 2 shown]
	v_fmac_f16_e32 v37, v12, v17
	v_fmac_f16_e32 v38, v8, v21
	;; [unrolled: 1-line block ×4, first 2 shown]
	v_fma_f16 v8, v24, v17, -v41
	v_fma_f16 v4, v4, v21, -v42
	v_fma_f16 v10, v23, v18, -v43
	v_fmac_f16_e32 v44, v11, v16
	v_fmac_f16_e32 v45, v7, v20
	v_sub_f16_e32 v7, v13, v32
	v_sub_f16_e32 v11, v9, v26
	;; [unrolled: 1-line block ×8, first 2 shown]
	v_add_f16_e32 v18, v7, v11
	v_sub_f16_e32 v19, v12, v14
	v_add_f16_e32 v20, v15, v4
	v_fma_f16 v13, v13, 2.0, -v7
	v_sub_f16_e32 v21, v10, v16
	v_fma_f16 v16, v44, 2.0, -v16
	v_fma_f16 v23, v28, 2.0, -v12
	;; [unrolled: 1-line block ×7, first 2 shown]
	v_fmamk_f16 v24, v20, 0x39a8, v18
	v_sub_f16_e32 v16, v13, v16
	v_sub_f16_e32 v4, v23, v4
	;; [unrolled: 1-line block ×4, first 2 shown]
	v_fma_f16 v7, v7, 2.0, -v18
	v_fma_f16 v12, v12, 2.0, -v19
	;; [unrolled: 1-line block ×4, first 2 shown]
	v_fmamk_f16 v25, v19, 0x39a8, v21
	v_fmac_f16_e32 v24, 0x39a8, v19
	v_add_f16_e32 v19, v16, v4
	v_fmamk_f16 v26, v15, 0xb9a8, v7
	v_fmamk_f16 v27, v12, 0xb9a8, v10
	v_fma_f16 v13, v13, 2.0, -v16
	v_fma_f16 v11, v11, 2.0, -v14
	;; [unrolled: 1-line block ×4, first 2 shown]
	v_fmac_f16_e32 v25, 0xb9a8, v20
	v_sub_f16_e32 v20, v9, v14
	v_fmac_f16_e32 v26, 0x39a8, v12
	v_fmac_f16_e32 v27, 0xb9a8, v15
	v_sub_f16_e32 v11, v13, v11
	v_sub_f16_e32 v4, v8, v4
	v_fma_f16 v14, v18, 2.0, -v24
	v_fma_f16 v18, v21, 2.0, -v25
	;; [unrolled: 1-line block ×8, first 2 shown]
	v_pack_b32_f16 v9, v12, v9
	v_pack_b32_f16 v12, v14, v18
	;; [unrolled: 1-line block ×6, first 2 shown]
	v_add_nc_u32_e32 v17, 0x1680, v0
	v_pack_b32_f16 v15, v19, v20
	v_pack_b32_f16 v10, v24, v25
	ds_write2_b32 v30, v9, v12 offset0:2 offset1:223
	ds_write2_b32 v31, v4, v11 offset0:28 offset1:249
	;; [unrolled: 1-line block ×4, first 2 shown]
.LBB0_19:
	s_or_b32 exec_lo, exec_lo, s1
	s_waitcnt lgkmcnt(0)
	s_barrier
	buffer_gl0_inv
	ds_read_b32 v13, v0
	v_lshlrev_b32_e32 v4, 2, v3
	s_add_u32 s1, s12, 0x1b5c
	s_addc_u32 s4, s13, 0
	s_mov_b32 s5, exec_lo
                                        ; implicit-def: $vgpr12
                                        ; implicit-def: $vgpr11
                                        ; implicit-def: $vgpr10
                                        ; implicit-def: $vgpr7_vgpr8
	v_sub_nc_u32_e32 v9, 0, v4
	v_cmpx_ne_u32_e32 0, v3
	s_xor_b32 s5, exec_lo, s5
	s_cbranch_execz .LBB0_21
; %bb.20:
	v_mov_b32_e32 v4, 0
	v_lshlrev_b64 v[7:8], 2, v[3:4]
	v_add_co_u32 v7, s0, s1, v7
	v_add_co_ci_u32_e64 v8, s0, s4, v8, s0
	global_load_dword v7, v[7:8], off
	ds_read_b32 v8, v9 offset:7072
	s_waitcnt lgkmcnt(0)
	v_sub_f16_e32 v10, v13, v8
	v_add_f16_sdwa v11, v8, v13 dst_sel:DWORD dst_unused:UNUSED_PAD src0_sel:WORD_1 src1_sel:WORD_1
	v_sub_f16_sdwa v12, v13, v8 dst_sel:DWORD dst_unused:UNUSED_PAD src0_sel:WORD_1 src1_sel:WORD_1
	v_add_f16_e32 v8, v8, v13
	v_mul_f16_e32 v14, 0.5, v10
	v_mul_f16_e32 v11, 0.5, v11
	;; [unrolled: 1-line block ×3, first 2 shown]
	s_waitcnt vmcnt(0)
	v_lshrrev_b32_e32 v10, 16, v7
	v_mul_f16_e32 v13, v10, v14
	v_fma_f16 v15, v11, v10, v12
	v_fma_f16 v12, v11, v10, -v12
	v_fma_f16 v16, 0.5, v8, v13
	v_fma_f16 v8, v8, 0.5, -v13
	v_fma_f16 v10, -v7, v14, v15
	v_fma_f16 v12, -v7, v14, v12
                                        ; implicit-def: $vgpr13
	v_fmac_f16_e32 v16, v7, v11
	v_fma_f16 v11, -v7, v11, v8
	v_mov_b32_e32 v8, v4
	v_mov_b32_e32 v7, v3
	ds_write_b16 v0, v16
.LBB0_21:
	s_andn2_saveexec_b32 s0, s5
	s_cbranch_execz .LBB0_23
; %bb.22:
	v_mov_b32_e32 v10, 0
	v_mov_b32_e32 v7, 0
	s_waitcnt lgkmcnt(0)
	v_add_f16_sdwa v14, v13, v13 dst_sel:DWORD dst_unused:UNUSED_PAD src0_sel:WORD_1 src1_sel:DWORD
	v_sub_f16_sdwa v11, v13, v13 dst_sel:DWORD dst_unused:UNUSED_PAD src0_sel:DWORD src1_sel:WORD_1
	v_mov_b32_e32 v8, 0
	ds_read_u16 v4, v10 offset:3538
	v_mov_b32_e32 v12, 0
	s_waitcnt lgkmcnt(0)
	v_xor_b32_e32 v4, 0x8000, v4
	ds_write_b16 v0, v14
	ds_write_b16 v10, v4 offset:3538
.LBB0_23:
	s_or_b32 exec_lo, exec_lo, s0
	v_lshlrev_b64 v[7:8], 2, v[7:8]
	v_perm_b32 v11, v12, v11, 0x5040100
	v_add_co_u32 v7, s0, s1, v7
	v_add_co_ci_u32_e64 v8, s0, s4, v8, s0
	s_mov_b32 s1, exec_lo
	global_load_dword v4, v[7:8], off offset:544
	s_waitcnt lgkmcnt(0)
	s_clause 0x1
	global_load_dword v13, v[7:8], off offset:1088
	global_load_dword v14, v[7:8], off offset:1632
	v_add_co_u32 v7, s0, 0x800, v7
	v_add_co_ci_u32_e64 v8, s0, 0, v8, s0
	s_clause 0x1
	global_load_dword v15, v[7:8], off offset:128
	global_load_dword v16, v[7:8], off offset:672
	ds_write_b16 v0, v10 offset:2
	ds_write_b32 v9, v11 offset:7072
	ds_read_b32 v10, v0 offset:544
	ds_read_b32 v11, v9 offset:6528
	s_waitcnt lgkmcnt(0)
	v_pk_add_f16 v12, v10, v11 neg_lo:[0,1] neg_hi:[0,1]
	v_pk_add_f16 v10, v10, v11
	v_bfi_b32 v11, 0xffff, v12, v10
	v_bfi_b32 v10, 0xffff, v10, v12
	v_pk_mul_f16 v11, v11, 0.5 op_sel_hi:[1,0]
	v_pk_mul_f16 v10, v10, 0.5 op_sel_hi:[1,0]
	s_waitcnt vmcnt(4)
	v_pk_fma_f16 v12, v4, v11, v10 op_sel:[1,0,0]
	v_pk_mul_f16 v17, v4, v11 op_sel_hi:[0,1]
	v_pk_fma_f16 v18, v4, v11, v10 op_sel:[1,0,0] neg_lo:[1,0,0] neg_hi:[1,0,0]
	v_pk_fma_f16 v4, v4, v11, v10 op_sel:[1,0,0] neg_lo:[0,0,1] neg_hi:[0,0,1]
	v_pk_add_f16 v10, v12, v17 op_sel:[0,1] op_sel_hi:[1,0]
	v_pk_add_f16 v11, v12, v17 op_sel:[0,1] op_sel_hi:[1,0] neg_lo:[0,1] neg_hi:[0,1]
	v_pk_add_f16 v12, v18, v17 op_sel:[0,1] op_sel_hi:[1,0] neg_lo:[0,1] neg_hi:[0,1]
	v_pk_add_f16 v4, v4, v17 op_sel:[0,1] op_sel_hi:[1,0] neg_lo:[0,1] neg_hi:[0,1]
	v_bfi_b32 v10, 0xffff, v10, v11
	v_bfi_b32 v4, 0xffff, v12, v4
	ds_write_b32 v0, v10 offset:544
	ds_write_b32 v9, v4 offset:6528
	ds_read_b32 v4, v0 offset:1088
	ds_read_b32 v10, v9 offset:5984
	s_waitcnt lgkmcnt(0)
	v_pk_add_f16 v11, v4, v10 neg_lo:[0,1] neg_hi:[0,1]
	v_pk_add_f16 v4, v4, v10
	v_bfi_b32 v10, 0xffff, v11, v4
	v_bfi_b32 v4, 0xffff, v4, v11
	v_pk_mul_f16 v10, v10, 0.5 op_sel_hi:[1,0]
	v_pk_mul_f16 v4, v4, 0.5 op_sel_hi:[1,0]
	s_waitcnt vmcnt(3)
	v_pk_mul_f16 v12, v13, v10 op_sel_hi:[0,1]
	v_pk_fma_f16 v11, v13, v10, v4 op_sel:[1,0,0]
	v_pk_fma_f16 v17, v13, v10, v4 op_sel:[1,0,0] neg_lo:[1,0,0] neg_hi:[1,0,0]
	v_pk_fma_f16 v4, v13, v10, v4 op_sel:[1,0,0] neg_lo:[0,0,1] neg_hi:[0,0,1]
	v_pk_add_f16 v10, v11, v12 op_sel:[0,1] op_sel_hi:[1,0]
	v_pk_add_f16 v11, v11, v12 op_sel:[0,1] op_sel_hi:[1,0] neg_lo:[0,1] neg_hi:[0,1]
	v_pk_add_f16 v13, v17, v12 op_sel:[0,1] op_sel_hi:[1,0] neg_lo:[0,1] neg_hi:[0,1]
	v_pk_add_f16 v4, v4, v12 op_sel:[0,1] op_sel_hi:[1,0] neg_lo:[0,1] neg_hi:[0,1]
	v_bfi_b32 v10, 0xffff, v10, v11
	v_bfi_b32 v4, 0xffff, v13, v4
	ds_write_b32 v0, v10 offset:1088
	ds_write_b32 v9, v4 offset:5984
	ds_read_b32 v4, v0 offset:1632
	ds_read_b32 v10, v9 offset:5440
	s_waitcnt lgkmcnt(0)
	v_pk_add_f16 v11, v4, v10 neg_lo:[0,1] neg_hi:[0,1]
	v_pk_add_f16 v4, v4, v10
	v_bfi_b32 v10, 0xffff, v11, v4
	v_bfi_b32 v4, 0xffff, v4, v11
	v_pk_mul_f16 v10, v10, 0.5 op_sel_hi:[1,0]
	v_pk_mul_f16 v4, v4, 0.5 op_sel_hi:[1,0]
	s_waitcnt vmcnt(2)
	v_pk_mul_f16 v12, v14, v10 op_sel_hi:[0,1]
	v_pk_fma_f16 v11, v14, v10, v4 op_sel:[1,0,0]
	;; [unrolled: 22-line block ×4, first 2 shown]
	v_pk_fma_f16 v13, v16, v10, v4 op_sel:[1,0,0] neg_lo:[1,0,0] neg_hi:[1,0,0]
	v_pk_fma_f16 v4, v16, v10, v4 op_sel:[1,0,0] neg_lo:[0,0,1] neg_hi:[0,0,1]
	v_pk_add_f16 v10, v11, v12 op_sel:[0,1] op_sel_hi:[1,0]
	v_pk_add_f16 v11, v11, v12 op_sel:[0,1] op_sel_hi:[1,0] neg_lo:[0,1] neg_hi:[0,1]
	v_pk_add_f16 v13, v13, v12 op_sel:[0,1] op_sel_hi:[1,0] neg_lo:[0,1] neg_hi:[0,1]
	;; [unrolled: 1-line block ×3, first 2 shown]
	v_bfi_b32 v10, 0xffff, v10, v11
	v_bfi_b32 v4, 0xffff, v13, v4
	ds_write_b32 v0, v10 offset:2720
	ds_write_b32 v9, v4 offset:4352
	v_cmpx_gt_u32_e32 0x44, v3
	s_cbranch_execz .LBB0_25
; %bb.24:
	global_load_dword v4, v[7:8], off offset:1216
	ds_read_b32 v7, v0 offset:3264
	ds_read_b32 v8, v9 offset:3808
	s_waitcnt lgkmcnt(0)
	v_pk_add_f16 v10, v7, v8 neg_lo:[0,1] neg_hi:[0,1]
	v_pk_add_f16 v7, v7, v8
	v_bfi_b32 v8, 0xffff, v10, v7
	v_bfi_b32 v7, 0xffff, v7, v10
	v_pk_mul_f16 v8, v8, 0.5 op_sel_hi:[1,0]
	v_pk_mul_f16 v7, v7, 0.5 op_sel_hi:[1,0]
	s_waitcnt vmcnt(0)
	v_pk_fma_f16 v10, v4, v8, v7 op_sel:[1,0,0]
	v_pk_mul_f16 v11, v4, v8 op_sel_hi:[0,1]
	v_pk_fma_f16 v12, v4, v8, v7 op_sel:[1,0,0] neg_lo:[1,0,0] neg_hi:[1,0,0]
	v_pk_fma_f16 v4, v4, v8, v7 op_sel:[1,0,0] neg_lo:[0,0,1] neg_hi:[0,0,1]
	v_pk_add_f16 v7, v10, v11 op_sel:[0,1] op_sel_hi:[1,0]
	v_pk_add_f16 v8, v10, v11 op_sel:[0,1] op_sel_hi:[1,0] neg_lo:[0,1] neg_hi:[0,1]
	v_pk_add_f16 v10, v12, v11 op_sel:[0,1] op_sel_hi:[1,0] neg_lo:[0,1] neg_hi:[0,1]
	;; [unrolled: 1-line block ×3, first 2 shown]
	v_bfi_b32 v7, 0xffff, v7, v8
	v_bfi_b32 v4, 0xffff, v10, v4
	ds_write_b32 v0, v7 offset:3264
	ds_write_b32 v9, v4 offset:3808
.LBB0_25:
	s_or_b32 exec_lo, exec_lo, s1
	s_waitcnt lgkmcnt(0)
	s_barrier
	buffer_gl0_inv
	s_and_saveexec_b32 s0, vcc_lo
	s_cbranch_execz .LBB0_28
; %bb.26:
	v_mul_lo_u32 v0, s3, v5
	v_mul_lo_u32 v4, s2, v6
	v_mad_u64_u32 v[5:6], null, s2, v5, 0
	v_lshl_add_u32 v21, v3, 2, 0
	v_add_nc_u32_e32 v7, 0x88, v3
	v_add_nc_u32_e32 v9, 0x110, v3
	;; [unrolled: 1-line block ×4, first 2 shown]
	ds_read2_b32 v[11:12], v21 offset1:136
	v_add3_u32 v6, v6, v4, v0
	v_mov_b32_e32 v4, 0
	v_lshlrev_b64 v[0:1], 2, v[1:2]
	v_add_nc_u32_e32 v19, 0x2a8, v3
	v_lshlrev_b64 v[5:6], 2, v[5:6]
	v_mov_b32_e32 v10, v4
	v_mov_b32_e32 v14, v4
	;; [unrolled: 1-line block ×4, first 2 shown]
	v_add_co_u32 v2, vcc_lo, s10, v5
	v_add_co_ci_u32_e32 v8, vcc_lo, s11, v6, vcc_lo
	v_lshlrev_b64 v[5:6], 2, v[3:4]
	v_add_co_u32 v0, vcc_lo, v2, v0
	v_add_co_ci_u32_e32 v1, vcc_lo, v8, v1, vcc_lo
	v_mov_b32_e32 v8, v4
	v_add_co_u32 v5, vcc_lo, v0, v5
	v_add_co_ci_u32_e32 v6, vcc_lo, v1, v6, vcc_lo
	v_lshlrev_b64 v[7:8], 2, v[7:8]
	v_add_nc_u32_e32 v2, 0x400, v21
	v_lshlrev_b64 v[9:10], 2, v[9:10]
	s_waitcnt lgkmcnt(0)
	global_store_dword v[5:6], v11, off
	v_add_nc_u32_e32 v11, 0x800, v21
	v_lshlrev_b64 v[13:14], 2, v[13:14]
	v_add_co_u32 v5, vcc_lo, v0, v7
	v_add_co_ci_u32_e32 v6, vcc_lo, v1, v8, vcc_lo
	ds_read2_b32 v[7:8], v2 offset0:16 offset1:152
	ds_read2_b32 v[17:18], v11 offset0:32 offset1:168
	v_add_co_u32 v9, vcc_lo, v0, v9
	v_lshlrev_b64 v[15:16], 2, v[15:16]
	v_add_co_ci_u32_e32 v10, vcc_lo, v1, v10, vcc_lo
	v_add_co_u32 v13, vcc_lo, v0, v13
	v_add_co_ci_u32_e32 v14, vcc_lo, v1, v14, vcc_lo
	v_add_co_u32 v15, vcc_lo, v0, v15
	v_add_co_ci_u32_e32 v16, vcc_lo, v1, v16, vcc_lo
	v_add_nc_u32_e32 v2, 0xc00, v21
	global_store_dword v[5:6], v12, off
	s_waitcnt lgkmcnt(1)
	global_store_dword v[9:10], v7, off
	global_store_dword v[13:14], v8, off
	s_waitcnt lgkmcnt(0)
	global_store_dword v[15:16], v17, off
	v_add_nc_u32_e32 v14, 0x1000, v21
	v_add_nc_u32_e32 v7, 0x330, v3
	v_mov_b32_e32 v8, v4
	v_lshlrev_b64 v[5:6], 2, v[19:20]
	ds_read2_b32 v[11:12], v2 offset0:48 offset1:184
	v_add_nc_u32_e32 v9, 0x3b8, v3
	v_mov_b32_e32 v10, v4
	ds_read2_b32 v[15:16], v14 offset0:64 offset1:200
	v_lshlrev_b64 v[7:8], 2, v[7:8]
	v_add_nc_u32_e32 v13, 0x440, v3
	v_mov_b32_e32 v14, v4
	v_add_co_u32 v5, vcc_lo, v0, v5
	v_lshlrev_b64 v[9:10], 2, v[9:10]
	v_add_co_ci_u32_e32 v6, vcc_lo, v1, v6, vcc_lo
	v_add_co_u32 v7, vcc_lo, v0, v7
	v_lshlrev_b64 v[13:14], 2, v[13:14]
	v_add_co_ci_u32_e32 v8, vcc_lo, v1, v8, vcc_lo
	v_add_co_u32 v9, vcc_lo, v0, v9
	v_add_co_ci_u32_e32 v10, vcc_lo, v1, v10, vcc_lo
	v_add_co_u32 v13, vcc_lo, v0, v13
	v_add_nc_u32_e32 v19, 0x4c8, v3
	v_add_co_ci_u32_e32 v14, vcc_lo, v1, v14, vcc_lo
	global_store_dword v[5:6], v18, off
	s_waitcnt lgkmcnt(1)
	global_store_dword v[7:8], v11, off
	global_store_dword v[9:10], v12, off
	s_waitcnt lgkmcnt(0)
	global_store_dword v[13:14], v15, off
	v_add_nc_u32_e32 v7, 0x550, v3
	v_mov_b32_e32 v8, v4
	v_add_nc_u32_e32 v2, 0x1400, v21
	v_lshlrev_b64 v[5:6], 2, v[19:20]
	v_add_nc_u32_e32 v9, 0x5d8, v3
	v_mov_b32_e32 v10, v4
	v_lshlrev_b64 v[7:8], 2, v[7:8]
	ds_read2_b32 v[11:12], v2 offset0:80 offset1:216
	v_add_nc_u32_e32 v13, 0x660, v3
	v_mov_b32_e32 v14, v4
	v_add_co_u32 v5, vcc_lo, v0, v5
	v_lshlrev_b64 v[9:10], 2, v[9:10]
	ds_read_b32 v2, v21 offset:6528
	v_add_co_ci_u32_e32 v6, vcc_lo, v1, v6, vcc_lo
	v_add_co_u32 v7, vcc_lo, v0, v7
	v_lshlrev_b64 v[13:14], 2, v[13:14]
	v_add_co_ci_u32_e32 v8, vcc_lo, v1, v8, vcc_lo
	v_add_co_u32 v9, vcc_lo, v0, v9
	v_add_co_ci_u32_e32 v10, vcc_lo, v1, v10, vcc_lo
	v_add_co_u32 v13, vcc_lo, v0, v13
	v_add_co_ci_u32_e32 v14, vcc_lo, v1, v14, vcc_lo
	v_cmp_eq_u32_e32 vcc_lo, 0x87, v3
	global_store_dword v[5:6], v16, off
	s_waitcnt lgkmcnt(1)
	global_store_dword v[7:8], v11, off
	global_store_dword v[9:10], v12, off
	s_waitcnt lgkmcnt(0)
	global_store_dword v[13:14], v2, off
	s_and_b32 exec_lo, exec_lo, vcc_lo
	s_cbranch_execz .LBB0_28
; %bb.27:
	ds_read_b32 v2, v4 offset:7072
	v_add_co_u32 v0, vcc_lo, 0x1800, v0
	v_add_co_ci_u32_e32 v1, vcc_lo, 0, v1, vcc_lo
	s_waitcnt lgkmcnt(0)
	global_store_dword v[0:1], v2, off offset:928
.LBB0_28:
	s_endpgm
	.section	.rodata,"a",@progbits
	.p2align	6, 0x0
	.amdhsa_kernel fft_rtc_back_len1768_factors_17_13_8_wgs_136_tpt_136_halfLds_half_op_CI_CI_unitstride_sbrr_R2C_dirReg
		.amdhsa_group_segment_fixed_size 0
		.amdhsa_private_segment_fixed_size 0
		.amdhsa_kernarg_size 104
		.amdhsa_user_sgpr_count 6
		.amdhsa_user_sgpr_private_segment_buffer 1
		.amdhsa_user_sgpr_dispatch_ptr 0
		.amdhsa_user_sgpr_queue_ptr 0
		.amdhsa_user_sgpr_kernarg_segment_ptr 1
		.amdhsa_user_sgpr_dispatch_id 0
		.amdhsa_user_sgpr_flat_scratch_init 0
		.amdhsa_user_sgpr_private_segment_size 0
		.amdhsa_wavefront_size32 1
		.amdhsa_uses_dynamic_stack 0
		.amdhsa_system_sgpr_private_segment_wavefront_offset 0
		.amdhsa_system_sgpr_workgroup_id_x 1
		.amdhsa_system_sgpr_workgroup_id_y 0
		.amdhsa_system_sgpr_workgroup_id_z 0
		.amdhsa_system_sgpr_workgroup_info 0
		.amdhsa_system_vgpr_workitem_id 0
		.amdhsa_next_free_vgpr 160
		.amdhsa_next_free_sgpr 27
		.amdhsa_reserve_vcc 1
		.amdhsa_reserve_flat_scratch 0
		.amdhsa_float_round_mode_32 0
		.amdhsa_float_round_mode_16_64 0
		.amdhsa_float_denorm_mode_32 3
		.amdhsa_float_denorm_mode_16_64 3
		.amdhsa_dx10_clamp 1
		.amdhsa_ieee_mode 1
		.amdhsa_fp16_overflow 0
		.amdhsa_workgroup_processor_mode 1
		.amdhsa_memory_ordered 1
		.amdhsa_forward_progress 0
		.amdhsa_shared_vgpr_count 0
		.amdhsa_exception_fp_ieee_invalid_op 0
		.amdhsa_exception_fp_denorm_src 0
		.amdhsa_exception_fp_ieee_div_zero 0
		.amdhsa_exception_fp_ieee_overflow 0
		.amdhsa_exception_fp_ieee_underflow 0
		.amdhsa_exception_fp_ieee_inexact 0
		.amdhsa_exception_int_div_zero 0
	.end_amdhsa_kernel
	.text
.Lfunc_end0:
	.size	fft_rtc_back_len1768_factors_17_13_8_wgs_136_tpt_136_halfLds_half_op_CI_CI_unitstride_sbrr_R2C_dirReg, .Lfunc_end0-fft_rtc_back_len1768_factors_17_13_8_wgs_136_tpt_136_halfLds_half_op_CI_CI_unitstride_sbrr_R2C_dirReg
                                        ; -- End function
	.section	.AMDGPU.csdata,"",@progbits
; Kernel info:
; codeLenInByte = 14712
; NumSgprs: 29
; NumVgprs: 160
; ScratchSize: 0
; MemoryBound: 0
; FloatMode: 240
; IeeeMode: 1
; LDSByteSize: 0 bytes/workgroup (compile time only)
; SGPRBlocks: 3
; VGPRBlocks: 19
; NumSGPRsForWavesPerEU: 29
; NumVGPRsForWavesPerEU: 160
; Occupancy: 6
; WaveLimiterHint : 1
; COMPUTE_PGM_RSRC2:SCRATCH_EN: 0
; COMPUTE_PGM_RSRC2:USER_SGPR: 6
; COMPUTE_PGM_RSRC2:TRAP_HANDLER: 0
; COMPUTE_PGM_RSRC2:TGID_X_EN: 1
; COMPUTE_PGM_RSRC2:TGID_Y_EN: 0
; COMPUTE_PGM_RSRC2:TGID_Z_EN: 0
; COMPUTE_PGM_RSRC2:TIDIG_COMP_CNT: 0
	.text
	.p2alignl 6, 3214868480
	.fill 48, 4, 3214868480
	.type	__hip_cuid_979bba7bda624f42,@object ; @__hip_cuid_979bba7bda624f42
	.section	.bss,"aw",@nobits
	.globl	__hip_cuid_979bba7bda624f42
__hip_cuid_979bba7bda624f42:
	.byte	0                               ; 0x0
	.size	__hip_cuid_979bba7bda624f42, 1

	.ident	"AMD clang version 19.0.0git (https://github.com/RadeonOpenCompute/llvm-project roc-6.4.0 25133 c7fe45cf4b819c5991fe208aaa96edf142730f1d)"
	.section	".note.GNU-stack","",@progbits
	.addrsig
	.addrsig_sym __hip_cuid_979bba7bda624f42
	.amdgpu_metadata
---
amdhsa.kernels:
  - .args:
      - .actual_access:  read_only
        .address_space:  global
        .offset:         0
        .size:           8
        .value_kind:     global_buffer
      - .offset:         8
        .size:           8
        .value_kind:     by_value
      - .actual_access:  read_only
        .address_space:  global
        .offset:         16
        .size:           8
        .value_kind:     global_buffer
      - .actual_access:  read_only
        .address_space:  global
        .offset:         24
        .size:           8
        .value_kind:     global_buffer
      - .actual_access:  read_only
        .address_space:  global
        .offset:         32
        .size:           8
        .value_kind:     global_buffer
      - .offset:         40
        .size:           8
        .value_kind:     by_value
      - .actual_access:  read_only
        .address_space:  global
        .offset:         48
        .size:           8
        .value_kind:     global_buffer
      - .actual_access:  read_only
        .address_space:  global
        .offset:         56
        .size:           8
        .value_kind:     global_buffer
      - .offset:         64
        .size:           4
        .value_kind:     by_value
      - .actual_access:  read_only
        .address_space:  global
        .offset:         72
        .size:           8
        .value_kind:     global_buffer
      - .actual_access:  read_only
        .address_space:  global
        .offset:         80
        .size:           8
        .value_kind:     global_buffer
      - .actual_access:  read_only
        .address_space:  global
        .offset:         88
        .size:           8
        .value_kind:     global_buffer
      - .actual_access:  write_only
        .address_space:  global
        .offset:         96
        .size:           8
        .value_kind:     global_buffer
    .group_segment_fixed_size: 0
    .kernarg_segment_align: 8
    .kernarg_segment_size: 104
    .language:       OpenCL C
    .language_version:
      - 2
      - 0
    .max_flat_workgroup_size: 136
    .name:           fft_rtc_back_len1768_factors_17_13_8_wgs_136_tpt_136_halfLds_half_op_CI_CI_unitstride_sbrr_R2C_dirReg
    .private_segment_fixed_size: 0
    .sgpr_count:     29
    .sgpr_spill_count: 0
    .symbol:         fft_rtc_back_len1768_factors_17_13_8_wgs_136_tpt_136_halfLds_half_op_CI_CI_unitstride_sbrr_R2C_dirReg.kd
    .uniform_work_group_size: 1
    .uses_dynamic_stack: false
    .vgpr_count:     160
    .vgpr_spill_count: 0
    .wavefront_size: 32
    .workgroup_processor_mode: 1
amdhsa.target:   amdgcn-amd-amdhsa--gfx1030
amdhsa.version:
  - 1
  - 2
...

	.end_amdgpu_metadata
